;; amdgpu-corpus repo=ROCm/rocFFT kind=compiled arch=gfx1201 opt=O3
	.text
	.amdgcn_target "amdgcn-amd-amdhsa--gfx1201"
	.amdhsa_code_object_version 6
	.protected	bluestein_single_back_len768_dim1_dp_op_CI_CI ; -- Begin function bluestein_single_back_len768_dim1_dp_op_CI_CI
	.globl	bluestein_single_back_len768_dim1_dp_op_CI_CI
	.p2align	8
	.type	bluestein_single_back_len768_dim1_dp_op_CI_CI,@function
bluestein_single_back_len768_dim1_dp_op_CI_CI: ; @bluestein_single_back_len768_dim1_dp_op_CI_CI
; %bb.0:
	s_load_b128 s[12:15], s[0:1], 0x28
	v_mul_u32_u24_e32 v1, 0x556, v0
	s_mov_b32 s2, exec_lo
	v_mov_b32_e32 v55, 0
	s_delay_alu instid0(VALU_DEP_2) | instskip(NEXT) | instid1(VALU_DEP_1)
	v_lshrrev_b32_e32 v1, 16, v1
	v_add_nc_u32_e32 v54, ttmp9, v1
	s_wait_kmcnt 0x0
	s_delay_alu instid0(VALU_DEP_1)
	v_cmpx_gt_u64_e64 s[12:13], v[54:55]
	s_cbranch_execz .LBB0_10
; %bb.1:
	s_clause 0x1
	s_load_b128 s[4:7], s[0:1], 0x18
	s_load_b128 s[8:11], s[0:1], 0x0
	v_mul_lo_u16 v1, v1, 48
	s_mov_b32 s13, 0x3fe6a09e
	s_mov_b32 s21, 0x3fed906b
	s_load_b64 s[0:1], s[0:1], 0x38
	v_mov_b32_e32 v55, v54
	v_sub_nc_u16 v64, v0, v1
	s_delay_alu instid0(VALU_DEP_1) | instskip(NEXT) | instid1(VALU_DEP_1)
	v_and_b32_e32 v214, 0xffff, v64
	v_or_b32_e32 v255, 0xc0, v214
	v_lshlrev_b32_e32 v213, 4, v214
	v_or_b32_e32 v58, 0x180, v214
	s_wait_kmcnt 0x0
	s_load_b128 s[16:19], s[4:5], 0x0
	v_or_b32_e32 v59, 0x240, v214
	s_clause 0xa
	global_load_b128 v[36:39], v213, s[8:9]
	global_load_b128 v[32:35], v213, s[8:9] offset:768
	global_load_b128 v[28:31], v213, s[8:9] offset:1536
	;; [unrolled: 1-line block ×10, first 2 shown]
	scratch_store_b64 off, v[55:56], off    ; 8-byte Folded Spill
	s_wait_kmcnt 0x0
	v_mad_co_u64_u32 v[44:45], null, s18, v54, 0
	v_mad_co_u64_u32 v[46:47], null, s16, v214, 0
	;; [unrolled: 1-line block ×5, first 2 shown]
	s_delay_alu instid0(VALU_DEP_4) | instskip(NEXT) | instid1(VALU_DEP_4)
	v_mad_co_u64_u32 v[54:55], null, s19, v54, v[45:46]
	v_mad_co_u64_u32 v[55:56], null, s17, v214, v[47:48]
	s_delay_alu instid0(VALU_DEP_4) | instskip(NEXT) | instid1(VALU_DEP_4)
	v_mad_co_u64_u32 v[56:57], null, s17, v255, v[49:50]
	v_mad_co_u64_u32 v[57:58], null, s17, v58, v[51:52]
	s_delay_alu instid0(VALU_DEP_4) | instskip(SKIP_3) | instid1(VALU_DEP_4)
	v_mov_b32_e32 v45, v54
	v_mad_co_u64_u32 v[58:59], null, s17, v59, v[53:54]
	v_mov_b32_e32 v47, v55
	v_mov_b32_e32 v49, v56
	v_lshlrev_b64_e32 v[44:45], 4, v[44:45]
	v_mov_b32_e32 v51, v57
	s_mul_u64 s[2:3], s[16:17], 0x300
	v_lshlrev_b64_e32 v[46:47], 4, v[46:47]
	v_mov_b32_e32 v53, v58
	v_lshlrev_b64_e32 v[48:49], 4, v[48:49]
	v_add_co_u32 v58, vcc_lo, s14, v44
	v_add_co_ci_u32_e32 v59, vcc_lo, s15, v45, vcc_lo
	v_lshlrev_b64_e32 v[44:45], 4, v[50:51]
	s_delay_alu instid0(VALU_DEP_3) | instskip(SKIP_1) | instid1(VALU_DEP_3)
	v_add_co_u32 v46, vcc_lo, v58, v46
	s_wait_alu 0xfffd
	v_add_co_ci_u32_e32 v47, vcc_lo, v59, v47, vcc_lo
	v_lshlrev_b64_e32 v[50:51], 4, v[52:53]
	s_delay_alu instid0(VALU_DEP_3) | instskip(SKIP_1) | instid1(VALU_DEP_3)
	v_add_co_u32 v52, vcc_lo, v46, s2
	s_wait_alu 0xfffd
	v_add_co_ci_u32_e32 v53, vcc_lo, s3, v47, vcc_lo
	v_add_co_u32 v48, vcc_lo, v58, v48
	s_wait_alu 0xfffd
	v_add_co_ci_u32_e32 v49, vcc_lo, v59, v49, vcc_lo
	;; [unrolled: 3-line block ×5, first 2 shown]
	v_add_co_u32 v50, vcc_lo, v58, v50
	s_mul_u64 s[4:5], s[16:17], 0x600
	s_wait_alu 0xfffd
	v_add_co_ci_u32_e32 v51, vcc_lo, v59, v51, vcc_lo
	v_add_co_u32 v58, vcc_lo, v56, s4
	s_wait_alu 0xfffd
	v_add_co_ci_u32_e32 v59, vcc_lo, s5, v57, vcc_lo
	s_clause 0x1
	global_load_b128 v[65:68], v[44:45], off
	global_load_b128 v[69:72], v[50:51], off
	v_add_co_u32 v44, vcc_lo, v58, s2
	s_wait_alu 0xfffd
	v_add_co_ci_u32_e32 v45, vcc_lo, s3, v59, vcc_lo
	s_clause 0x1
	global_load_b128 v[73:76], v[46:47], off
	global_load_b128 v[77:80], v[52:53], off
	;; [unrolled: 6-line block ×4, first 2 shown]
	v_add_co_u32 v52, vcc_lo, v46, s2
	s_wait_alu 0xfffd
	v_add_co_ci_u32_e32 v53, vcc_lo, s3, v47, vcc_lo
	s_mov_b32 s14, 0xcf328d46
	s_delay_alu instid0(VALU_DEP_2) | instskip(SKIP_1) | instid1(VALU_DEP_2)
	v_add_co_u32 v48, vcc_lo, v52, s2
	s_wait_alu 0xfffd
	v_add_co_ci_u32_e32 v49, vcc_lo, s3, v53, vcc_lo
	global_load_b128 v[97:100], v[44:45], off
	global_load_b128 v[101:104], v[50:51], off
	;; [unrolled: 1-line block ×5, first 2 shown]
	v_add_co_u32 v52, vcc_lo, v48, s4
	s_wait_alu 0xfffd
	v_add_co_ci_u32_e32 v53, vcc_lo, s5, v49, vcc_lo
	s_clause 0x1
	global_load_b128 v[48:51], v213, s[8:9] offset:7680
	global_load_b128 v[44:47], v213, s[8:9] offset:8448
	v_add_co_u32 v56, vcc_lo, v52, s2
	s_wait_alu 0xfffd
	v_add_co_ci_u32_e32 v57, vcc_lo, s3, v53, vcc_lo
	global_load_b128 v[117:120], v[52:53], off
	v_add_co_u32 v125, vcc_lo, v56, s2
	s_wait_alu 0xfffd
	v_add_co_ci_u32_e32 v126, vcc_lo, s3, v57, vcc_lo
	global_load_b128 v[52:55], v213, s[8:9] offset:9984
	global_load_b128 v[121:124], v[56:57], off
	s_clause 0x1
	global_load_b128 v[56:59], v213, s[8:9] offset:10752
	global_load_b128 v[60:63], v213, s[8:9] offset:11520
	global_load_b128 v[125:128], v[125:126], off
	s_load_b128 s[4:7], s[6:7], 0x0
	s_mov_b32 s2, 0x667f3bcd
	s_mov_b32 s3, 0xbfe6a09e
	s_wait_alu 0xfffe
	s_mov_b32 s12, s2
	s_mov_b32 s15, 0xbfed906b
	;; [unrolled: 1-line block ×6, first 2 shown]
	s_wait_alu 0xfffe
	s_mov_b32 s18, s16
	v_cmp_gt_u16_e32 vcc_lo, 16, v64
	s_wait_loadcnt 0x14
	v_mul_f64_e32 v[137:138], v[67:68], v[26:27]
	v_mul_f64_e32 v[139:140], v[65:66], v[26:27]
	s_wait_loadcnt 0x13
	v_mul_f64_e32 v[141:142], v[71:72], v[42:43]
	v_mul_f64_e32 v[143:144], v[69:70], v[42:43]
	;; [unrolled: 3-line block ×16, first 2 shown]
	v_fma_f64 v[73:74], v[73:74], v[36:37], v[129:130]
	v_fma_f64 v[75:76], v[75:76], v[36:37], -v[131:132]
	v_fma_f64 v[77:78], v[77:78], v[32:33], v[145:146]
	v_fma_f64 v[79:80], v[79:80], v[32:33], -v[147:148]
	v_fma_f64 v[65:66], v[65:66], v[24:25], v[137:138]
	v_fma_f64 v[81:82], v[81:82], v[28:29], v[149:150]
	v_fma_f64 v[83:84], v[83:84], v[28:29], -v[151:152]
	v_fma_f64 v[85:86], v[85:86], v[20:21], v[153:154]
	v_fma_f64 v[87:88], v[87:88], v[20:21], -v[155:156]
	v_fma_f64 v[67:68], v[67:68], v[24:25], -v[139:140]
	v_fma_f64 v[89:90], v[89:90], v[12:13], v[133:134]
	v_fma_f64 v[91:92], v[91:92], v[12:13], -v[135:136]
	v_fma_f64 v[93:94], v[93:94], v[8:9], v[157:158]
	v_fma_f64 v[95:96], v[95:96], v[8:9], -v[159:160]
	v_fma_f64 v[69:70], v[69:70], v[40:41], v[141:142]
	v_fma_f64 v[71:72], v[71:72], v[40:41], -v[143:144]
	v_fma_f64 v[97:98], v[97:98], v[4:5], v[161:162]
	v_fma_f64 v[99:100], v[99:100], v[4:5], -v[163:164]
	v_fma_f64 v[101:102], v[101:102], v[0:1], v[165:166]
	v_fma_f64 v[103:104], v[103:104], v[0:1], -v[167:168]
	v_fma_f64 v[105:106], v[105:106], v[16:17], v[169:170]
	v_fma_f64 v[107:108], v[107:108], v[16:17], -v[171:172]
	v_fma_f64 v[109:110], v[109:110], v[48:49], v[173:174]
	v_fma_f64 v[111:112], v[111:112], v[48:49], -v[175:176]
	v_fma_f64 v[113:114], v[113:114], v[44:45], v[177:178]
	v_fma_f64 v[115:116], v[115:116], v[44:45], -v[179:180]
	v_fma_f64 v[117:118], v[117:118], v[52:53], v[181:182]
	v_fma_f64 v[119:120], v[119:120], v[52:53], -v[183:184]
	v_fma_f64 v[121:122], v[121:122], v[56:57], v[185:186]
	v_fma_f64 v[123:124], v[123:124], v[56:57], -v[187:188]
	v_fma_f64 v[125:126], v[125:126], v[60:61], v[189:190]
	v_fma_f64 v[127:128], v[127:128], v[60:61], -v[191:192]
	ds_store_b128 v213, v[73:76]
	ds_store_b128 v213, v[77:80] offset:768
	ds_store_b128 v213, v[81:84] offset:1536
	;; [unrolled: 1-line block ×15, first 2 shown]
	global_wb scope:SCOPE_SE
	s_wait_storecnt_dscnt 0x0
	s_wait_kmcnt 0x0
	s_barrier_signal -1
	s_barrier_wait -1
	global_inv scope:SCOPE_SE
	ds_load_b128 v[65:68], v213 offset:6144
	ds_load_b128 v[69:72], v213
	ds_load_b128 v[73:76], v213 offset:3072
	ds_load_b128 v[77:80], v213 offset:9216
	;; [unrolled: 1-line block ×14, first 2 shown]
	global_wb scope:SCOPE_SE
	s_wait_dscnt 0x0
	s_barrier_signal -1
	s_barrier_wait -1
	global_inv scope:SCOPE_SE
	v_add_f64_e64 v[65:66], v[69:70], -v[65:66]
	v_add_f64_e64 v[67:68], v[71:72], -v[67:68]
	;; [unrolled: 1-line block ×16, first 2 shown]
	v_fma_f64 v[69:70], v[69:70], 2.0, -v[65:66]
	v_fma_f64 v[71:72], v[71:72], 2.0, -v[67:68]
	v_add_f64_e32 v[131:132], v[67:68], v[77:78]
	v_add_f64_e64 v[129:130], v[65:66], -v[79:80]
	v_fma_f64 v[73:74], v[73:74], 2.0, -v[77:78]
	v_fma_f64 v[75:76], v[75:76], 2.0, -v[79:80]
	v_add_f64_e32 v[135:136], v[87:88], v[93:94]
	v_add_f64_e64 v[133:134], v[85:86], -v[95:96]
	;; [unrolled: 4-line block ×3, first 2 shown]
	v_fma_f64 v[81:82], v[89:90], 2.0, -v[93:94]
	v_fma_f64 v[83:84], v[91:92], 2.0, -v[95:96]
	v_add_f64_e64 v[141:142], v[117:118], -v[127:128]
	v_add_f64_e32 v[143:144], v[119:120], v[125:126]
	v_fma_f64 v[89:90], v[97:98], 2.0, -v[101:102]
	v_fma_f64 v[91:92], v[99:100], 2.0, -v[103:104]
	;; [unrolled: 1-line block ×10, first 2 shown]
	v_add_f64_e64 v[73:74], v[69:70], -v[73:74]
	v_add_f64_e64 v[75:76], v[71:72], -v[75:76]
	v_fma_f64 v[87:88], v[87:88], 2.0, -v[135:136]
	v_fma_f64 v[85:86], v[85:86], 2.0, -v[133:134]
	v_fma_f64 v[113:114], v[133:134], s[12:13], v[129:130]
	v_fma_f64 v[115:116], v[135:136], s[12:13], v[131:132]
	v_fma_f64 v[103:104], v[103:104], 2.0, -v[139:140]
	v_fma_f64 v[101:102], v[101:102], 2.0, -v[137:138]
	v_add_f64_e64 v[81:82], v[77:78], -v[81:82]
	v_add_f64_e64 v[83:84], v[79:80], -v[83:84]
	v_fma_f64 v[109:110], v[117:118], 2.0, -v[141:142]
	v_fma_f64 v[111:112], v[119:120], 2.0, -v[143:144]
	v_fma_f64 v[117:118], v[141:142], s[12:13], v[137:138]
	v_fma_f64 v[119:120], v[143:144], s[12:13], v[139:140]
	v_add_f64_e64 v[93:94], v[89:90], -v[93:94]
	v_add_f64_e64 v[95:96], v[91:92], -v[95:96]
	;; [unrolled: 1-line block ×4, first 2 shown]
	v_fma_f64 v[69:70], v[69:70], 2.0, -v[73:74]
	v_fma_f64 v[71:72], v[71:72], 2.0, -v[75:76]
	v_fma_f64 v[123:124], v[87:88], s[2:3], v[67:68]
	v_fma_f64 v[121:122], v[85:86], s[2:3], v[65:66]
	;; [unrolled: 1-line block ×4, first 2 shown]
	v_fma_f64 v[77:78], v[77:78], 2.0, -v[81:82]
	v_fma_f64 v[79:80], v[79:80], 2.0, -v[83:84]
	v_fma_f64 v[125:126], v[109:110], s[2:3], v[101:102]
	v_fma_f64 v[127:128], v[111:112], s[2:3], v[103:104]
	v_add_f64_e64 v[145:146], v[73:74], -v[83:84]
	v_add_f64_e32 v[147:148], v[75:76], v[81:82]
	v_fma_f64 v[117:118], v[143:144], s[2:3], v[117:118]
	v_fma_f64 v[119:120], v[141:142], s[12:13], v[119:120]
	v_fma_f64 v[89:90], v[89:90], 2.0, -v[93:94]
	v_fma_f64 v[91:92], v[91:92], 2.0, -v[95:96]
	v_add_f64_e64 v[81:82], v[93:94], -v[105:106]
	v_add_f64_e32 v[83:84], v[95:96], v[107:108]
	v_fma_f64 v[97:98], v[97:98], 2.0, -v[107:108]
	v_fma_f64 v[99:100], v[99:100], 2.0, -v[105:106]
	v_fma_f64 v[123:124], v[85:86], s[12:13], v[123:124]
	v_fma_f64 v[121:122], v[87:88], s[2:3], v[121:122]
	;; [unrolled: 1-line block ×4, first 2 shown]
	v_fma_f64 v[73:74], v[73:74], 2.0, -v[145:146]
	v_fma_f64 v[125:126], v[75:76], 2.0, -v[147:148]
	;; [unrolled: 1-line block ×4, first 2 shown]
	v_add_f64_e64 v[109:110], v[69:70], -v[77:78]
	v_add_f64_e64 v[111:112], v[71:72], -v[79:80]
	v_fma_f64 v[85:86], v[93:94], 2.0, -v[81:82]
	v_fma_f64 v[87:88], v[95:96], 2.0, -v[83:84]
	;; [unrolled: 1-line block ×4, first 2 shown]
	v_add_f64_e64 v[97:98], v[89:90], -v[97:98]
	v_add_f64_e64 v[99:100], v[91:92], -v[99:100]
	v_fma_f64 v[75:76], v[117:118], s[20:21], v[113:114]
	v_fma_f64 v[78:79], v[119:120], s[20:21], v[115:116]
	v_fma_f64 v[133:134], v[67:68], 2.0, -v[123:124]
	v_fma_f64 v[131:132], v[65:66], 2.0, -v[121:122]
	v_fma_f64 v[65:66], v[81:82], s[12:13], v[145:146]
	v_fma_f64 v[67:68], v[83:84], s[12:13], v[147:148]
	v_fma_f64 v[101:102], v[101:102], 2.0, -v[105:106]
	v_fma_f64 v[103:104], v[103:104], 2.0, -v[107:108]
	s_wait_alu 0xfffe
	v_fma_f64 v[151:152], v[105:106], s[18:19], v[121:122]
	v_fma_f64 v[153:154], v[107:108], s[18:19], v[123:124]
	v_fma_f64 v[135:136], v[69:70], 2.0, -v[109:110]
	v_fma_f64 v[137:138], v[71:72], 2.0, -v[111:112]
	v_fma_f64 v[139:140], v[85:86], s[2:3], v[73:74]
	v_fma_f64 v[141:142], v[87:88], s[2:3], v[125:126]
	;; [unrolled: 1-line block ×4, first 2 shown]
	v_fma_f64 v[155:156], v[89:90], 2.0, -v[97:98]
	v_fma_f64 v[157:158], v[91:92], 2.0, -v[99:100]
	v_fma_f64 v[76:77], v[119:120], s[16:17], v[75:76]
	v_fma_f64 v[78:79], v[117:118], s[18:19], v[78:79]
	v_add_f64_e64 v[69:70], v[109:110], -v[99:100]
	v_add_f64_e32 v[71:72], v[111:112], v[97:98]
	v_fma_f64 v[65:66], v[83:84], s[2:3], v[65:66]
	v_fma_f64 v[67:68], v[81:82], s[12:13], v[67:68]
	;; [unrolled: 1-line block ×10, first 2 shown]
	v_add_f64_e64 v[92:93], v[135:136], -v[155:156]
	v_add_f64_e64 v[94:95], v[137:138], -v[157:158]
	v_fma_f64 v[106:107], v[115:116], 2.0, -v[78:79]
	v_fma_f64 v[108:109], v[109:110], 2.0, -v[69:70]
	;; [unrolled: 1-line block ×3, first 2 shown]
                                        ; implicit-def: $vgpr140_vgpr141
	v_fma_f64 v[96:97], v[103:104], s[16:17], v[159:160]
	v_fma_f64 v[98:99], v[101:102], s[18:19], v[161:162]
	v_fma_f64 v[100:101], v[145:146], 2.0, -v[65:66]
	v_fma_f64 v[102:103], v[147:148], 2.0, -v[67:68]
	;; [unrolled: 1-line block ×3, first 2 shown]
	v_add_co_u32 v148, s2, s8, v213
	s_wait_alu 0xf1ff
	v_add_co_ci_u32_e64 v149, null, s9, 0, s2
	v_fma_f64 v[112:113], v[73:74], 2.0, -v[80:81]
	v_fma_f64 v[114:115], v[125:126], 2.0, -v[82:83]
	;; [unrolled: 1-line block ×8, first 2 shown]
	v_lshlrev_b16 v73, 4, v64
                                        ; implicit-def: $vgpr144_vgpr145
	s_delay_alu instid0(VALU_DEP_1) | instskip(NEXT) | instid1(VALU_DEP_1)
	v_and_b32_e32 v73, 0xffff, v73
	v_lshlrev_b32_e32 v150, 4, v73
	v_fma_f64 v[128:129], v[131:132], 2.0, -v[96:97]
	v_fma_f64 v[130:131], v[133:134], 2.0, -v[98:99]
	ds_store_b128 v150, v[65:68] offset:224
	ds_store_b128 v150, v[76:79] offset:240
	;; [unrolled: 1-line block ×14, first 2 shown]
	ds_store_b128 v150, v[124:127]
	ds_store_b128 v150, v[128:131] offset:16
	global_wb scope:SCOPE_SE
	s_wait_dscnt 0x0
	s_barrier_signal -1
	s_barrier_wait -1
	global_inv scope:SCOPE_SE
	ds_load_b128 v[84:87], v213
	ds_load_b128 v[80:83], v213 offset:768
	ds_load_b128 v[112:115], v213 offset:8192
	;; [unrolled: 1-line block ×14, first 2 shown]
	s_and_saveexec_b32 s2, vcc_lo
	s_cbranch_execz .LBB0_3
; %bb.2:
	ds_load_b128 v[76:79], v213 offset:3840
	ds_load_b128 v[140:143], v213 offset:7936
	;; [unrolled: 1-line block ×3, first 2 shown]
.LBB0_3:
	s_wait_alu 0xfffe
	s_or_b32 exec_lo, exec_lo, s2
	v_lshlrev_b32_e32 v64, 5, v214
	v_and_b32_e32 v201, 15, v214
	s_mov_b32 s2, 0xe8584caa
	s_mov_b32 s3, 0x3febb67a
	;; [unrolled: 1-line block ×3, first 2 shown]
	v_and_b32_e32 v151, 0x1e0, v64
	s_wait_alu 0xfffe
	s_mov_b32 s12, s2
	v_add_nc_u32_e32 v202, 48, v214
	v_add_nc_u32_e32 v203, 0x60, v214
	;; [unrolled: 1-line block ×3, first 2 shown]
	s_clause 0x3
	global_load_b128 v[64:67], v151, s[10:11]
	global_load_b128 v[68:71], v151, s[10:11] offset:16
	global_load_b128 v[72:75], v151, s[10:11] offset:8
	global_load_b64 v[197:198], v151, s[10:11] offset:24
	v_lshlrev_b32_e32 v151, 5, v201
	v_lshrrev_b32_e32 v205, 4, v214
	v_lshrrev_b32_e32 v206, 4, v255
	global_load_b64 v[211:212], v151, s[10:11]
	s_wait_loadcnt_dscnt 0x404
	v_mul_f64_e32 v[151:152], v[138:139], v[66:67]
	v_mul_f64_e32 v[153:154], v[136:137], v[66:67]
	s_wait_loadcnt 0x3
	v_mul_f64_e32 v[155:156], v[114:115], v[70:71]
	v_mul_f64_e32 v[157:158], v[112:113], v[70:71]
	;; [unrolled: 1-line block ×10, first 2 shown]
	s_wait_dscnt 0x2
	v_mul_f64_e32 v[175:176], v[134:135], v[66:67]
	v_mul_f64_e32 v[177:178], v[132:133], v[66:67]
	;; [unrolled: 1-line block ×4, first 2 shown]
	s_wait_dscnt 0x1
	v_mul_f64_e32 v[183:184], v[130:131], v[66:67]
	v_mul_f64_e32 v[185:186], v[128:129], v[66:67]
	s_wait_dscnt 0x0
	v_mul_f64_e32 v[187:188], v[118:119], v[70:71]
	v_mul_f64_e32 v[189:190], v[116:117], v[70:71]
	s_wait_loadcnt 0x2
	v_mul_f64_e32 v[191:192], v[142:143], v[72:73]
	v_mul_f64_e32 v[193:194], v[140:141], v[72:73]
	s_wait_loadcnt 0x1
	v_mul_f64_e32 v[195:196], v[146:147], v[197:198]
	scratch_store_b64 off, v[197:198], off offset:12 ; 8-byte Folded Spill
	v_mul_f64_e32 v[197:198], v[144:145], v[197:198]
	global_wb scope:SCOPE_SE
	s_wait_loadcnt 0x0
	s_wait_storecnt 0x0
	s_barrier_signal -1
	s_barrier_wait -1
	global_inv scope:SCOPE_SE
	v_fma_f64 v[136:137], v[136:137], v[211:212], -v[151:152]
	v_fma_f64 v[138:139], v[138:139], v[211:212], v[153:154]
	v_fma_f64 v[112:113], v[112:113], v[74:75], -v[155:156]
	v_fma_f64 v[114:115], v[114:115], v[74:75], v[157:158]
	;; [unrolled: 2-line block ×12, first 2 shown]
	v_add_f64_e32 v[175:176], v[84:85], v[136:137]
	v_add_f64_e32 v[140:141], v[136:137], v[112:113]
	;; [unrolled: 1-line block ×3, first 2 shown]
	v_add_f64_e64 v[177:178], v[138:139], -v[114:115]
	v_add_f64_e32 v[138:139], v[86:87], v[138:139]
	v_add_f64_e32 v[144:145], v[120:121], v[151:152]
	;; [unrolled: 1-line block ×3, first 2 shown]
	v_add_f64_e64 v[136:137], v[136:137], -v[112:113]
	v_add_f64_e32 v[179:180], v[80:81], v[120:121]
	v_add_f64_e32 v[159:160], v[155:156], v[124:125]
	;; [unrolled: 1-line block ×16, first 2 shown]
	v_add_f64_e64 v[195:196], v[122:123], -v[153:154]
	v_add_f64_e64 v[157:158], v[157:158], -v[126:127]
	;; [unrolled: 1-line block ×5, first 2 shown]
	v_fma_f64 v[140:141], v[140:141], -0.5, v[84:85]
	v_fma_f64 v[122:123], v[142:143], -0.5, v[86:87]
	v_add_f64_e64 v[142:143], v[120:121], -v[151:152]
	v_fma_f64 v[144:145], v[144:145], -0.5, v[80:81]
	v_fma_f64 v[146:147], v[146:147], -0.5, v[82:83]
	v_add_f64_e32 v[80:81], v[175:176], v[112:113]
	v_add_f64_e32 v[82:83], v[138:139], v[114:115]
	v_fma_f64 v[159:160], v[159:160], -0.5, v[96:97]
	v_fma_f64 v[161:162], v[161:162], -0.5, v[98:99]
	v_add_f64_e32 v[84:85], v[179:180], v[151:152]
	v_add_f64_e32 v[86:87], v[181:182], v[153:154]
	v_fma_f64 v[88:89], v[163:164], -0.5, v[88:89]
	v_add_f64_e64 v[163:164], v[130:131], -v[118:119]
	v_fma_f64 v[90:91], v[165:166], -0.5, v[90:91]
	v_add_f64_e64 v[165:166], v[128:129], -v[116:117]
	;; [unrolled: 2-line block ×4, first 2 shown]
	v_fma_f64 v[171:172], v[171:172], -0.5, v[76:77]
	v_add_f64_e32 v[96:97], v[183:184], v[124:125]
	v_fma_f64 v[173:174], v[173:174], -0.5, v[78:79]
	v_add_f64_e32 v[98:99], v[185:186], v[126:127]
	v_add_f64_e32 v[112:113], v[191:192], v[116:117]
	;; [unrolled: 1-line block ×5, first 2 shown]
	v_fma_f64 v[116:117], v[177:178], s[2:3], v[140:141]
	s_wait_alu 0xfffe
	v_fma_f64 v[120:121], v[177:178], s[12:13], v[140:141]
	v_fma_f64 v[118:119], v[136:137], s[12:13], v[122:123]
	;; [unrolled: 1-line block ×23, first 2 shown]
	v_lshrrev_b32_e32 v160, 4, v202
	v_lshrrev_b32_e32 v161, 4, v203
	;; [unrolled: 1-line block ×3, first 2 shown]
	v_mul_u32_u24_e32 v159, 48, v205
	v_mul_u32_u24_e32 v163, 48, v206
	;; [unrolled: 1-line block ×5, first 2 shown]
	v_or_b32_e32 v159, v159, v201
	v_or_b32_e32 v163, v163, v201
	;; [unrolled: 1-line block ×5, first 2 shown]
	v_lshlrev_b32_e32 v222, 4, v159
	v_lshlrev_b32_e32 v159, 4, v163
	;; [unrolled: 1-line block ×5, first 2 shown]
	ds_store_b128 v222, v[80:83]
	ds_store_b128 v222, v[116:119] offset:256
	ds_store_b128 v222, v[120:123] offset:512
	ds_store_b128 v221, v[84:87]
	ds_store_b128 v221, v[124:127] offset:256
	ds_store_b128 v221, v[128:131] offset:512
	;; [unrolled: 3-line block ×4, first 2 shown]
	ds_store_b128 v159, v[112:115]
	ds_store_b128 v159, v[151:154] offset:256
	scratch_store_b32 off, v159, off offset:8 ; 4-byte Folded Spill
	ds_store_b128 v159, v[155:158] offset:512
	s_and_saveexec_b32 s2, vcc_lo
	s_cbranch_execz .LBB0_5
; %bb.4:
	v_add_f64_e32 v[78:79], v[78:79], v[106:107]
	v_add_f64_e32 v[76:77], v[76:77], v[100:101]
	s_delay_alu instid0(VALU_DEP_2) | instskip(NEXT) | instid1(VALU_DEP_2)
	v_add_f64_e32 v[78:79], v[78:79], v[104:105]
	v_add_f64_e32 v[76:77], v[76:77], v[102:103]
	ds_store_b128 v213, v[76:79] offset:11520
	ds_store_b128 v213, v[88:91] offset:11776
	;; [unrolled: 1-line block ×3, first 2 shown]
.LBB0_5:
	s_wait_alu 0xfffe
	s_or_b32 exec_lo, exec_lo, s2
	v_mad_co_u64_u32 v[144:145], null, 0xf0, v214, s[10:11]
	global_wb scope:SCOPE_SE
	s_wait_storecnt_dscnt 0x0
	s_barrier_signal -1
	s_barrier_wait -1
	global_inv scope:SCOPE_SE
	s_mov_b32 s2, 0x667f3bcd
	s_mov_b32 s3, 0xbfe6a09e
	s_clause 0x2
	global_load_b128 v[84:87], v[144:145], off offset:512
	global_load_b128 v[80:83], v[144:145], off offset:528
	;; [unrolled: 1-line block ×3, first 2 shown]
	ds_load_b128 v[96:99], v213 offset:768
	ds_load_b128 v[100:103], v213 offset:1536
	s_mov_b32 s11, 0x3fe6a09e
	s_wait_alu 0xfffe
	s_mov_b32 s10, s2
	s_mov_b32 s19, 0x3fed906b
	;; [unrolled: 1-line block ×6, first 2 shown]
	s_wait_alu 0xfffe
	s_mov_b32 s16, s12
	s_add_nc_u64 s[8:9], s[8:9], 0x3000
	s_wait_loadcnt_dscnt 0x201
	v_mul_f64_e32 v[104:105], v[98:99], v[86:87]
	v_mul_f64_e32 v[106:107], v[96:97], v[86:87]
	s_wait_loadcnt_dscnt 0x100
	v_mul_f64_e32 v[108:109], v[102:103], v[82:83]
	v_mul_f64_e32 v[110:111], v[100:101], v[82:83]
	s_delay_alu instid0(VALU_DEP_4) | instskip(NEXT) | instid1(VALU_DEP_4)
	v_fma_f64 v[151:152], v[96:97], v[84:85], -v[104:105]
	v_fma_f64 v[153:154], v[98:99], v[84:85], v[106:107]
	ds_load_b128 v[96:99], v213 offset:2304
	v_fma_f64 v[155:156], v[100:101], v[80:81], -v[108:109]
	v_fma_f64 v[157:158], v[102:103], v[80:81], v[110:111]
	s_wait_loadcnt_dscnt 0x0
	v_mul_f64_e32 v[104:105], v[98:99], v[78:79]
	v_mul_f64_e32 v[100:101], v[96:97], v[78:79]
	s_delay_alu instid0(VALU_DEP_2) | instskip(NEXT) | instid1(VALU_DEP_2)
	v_fma_f64 v[159:160], v[96:97], v[76:77], -v[104:105]
	v_fma_f64 v[161:162], v[98:99], v[76:77], v[100:101]
	global_load_b128 v[96:99], v[144:145], off offset:560
	ds_load_b128 v[100:103], v213 offset:3072
	s_wait_loadcnt_dscnt 0x0
	v_mul_f64_e32 v[104:105], v[102:103], v[98:99]
	s_delay_alu instid0(VALU_DEP_1)
	v_fma_f64 v[163:164], v[100:101], v[96:97], -v[104:105]
	v_mul_f64_e32 v[100:101], v[100:101], v[98:99]
	ds_load_b128 v[104:107], v213 offset:3840
	v_fma_f64 v[165:166], v[102:103], v[96:97], v[100:101]
	global_load_b128 v[100:103], v[144:145], off offset:576
	s_wait_loadcnt_dscnt 0x0
	v_mul_f64_e32 v[108:109], v[106:107], v[102:103]
	s_delay_alu instid0(VALU_DEP_1)
	v_fma_f64 v[167:168], v[104:105], v[100:101], -v[108:109]
	v_mul_f64_e32 v[104:105], v[104:105], v[102:103]
	ds_load_b128 v[108:111], v213 offset:4608
	v_fma_f64 v[169:170], v[106:107], v[100:101], v[104:105]
	global_load_b128 v[104:107], v[144:145], off offset:592
	;; [unrolled: 8-line block ×5, first 2 shown]
	s_wait_loadcnt_dscnt 0x0
	v_mul_f64_e32 v[124:125], v[122:123], v[118:119]
	s_delay_alu instid0(VALU_DEP_1)
	v_fma_f64 v[183:184], v[120:121], v[116:117], -v[124:125]
	v_mul_f64_e32 v[120:121], v[120:121], v[118:119]
	ds_load_b128 v[124:127], v213 offset:7680
	v_add_f64_e64 v[183:184], v[163:164], -v[183:184]
	v_fma_f64 v[185:186], v[122:123], v[116:117], v[120:121]
	global_load_b128 v[120:123], v[144:145], off offset:656
	v_add_f64_e64 v[185:186], v[165:166], -v[185:186]
	s_wait_loadcnt_dscnt 0x0
	v_mul_f64_e32 v[128:129], v[126:127], v[122:123]
	s_delay_alu instid0(VALU_DEP_1)
	v_fma_f64 v[187:188], v[124:125], v[120:121], -v[128:129]
	v_mul_f64_e32 v[124:125], v[124:125], v[122:123]
	ds_load_b128 v[128:131], v213 offset:10752
	v_add_f64_e64 v[187:188], v[155:156], -v[187:188]
	v_fma_f64 v[189:190], v[126:127], v[120:121], v[124:125]
	global_load_b128 v[124:127], v[144:145], off offset:720
	v_fma_f64 v[225:226], v[155:156], 2.0, -v[187:188]
	v_add_f64_e64 v[189:190], v[157:158], -v[189:190]
	s_delay_alu instid0(VALU_DEP_1) | instskip(SKIP_2) | instid1(VALU_DEP_1)
	v_fma_f64 v[227:228], v[157:158], 2.0, -v[189:190]
	s_wait_loadcnt_dscnt 0x0
	v_mul_f64_e32 v[132:133], v[130:131], v[126:127]
	v_fma_f64 v[191:192], v[128:129], v[124:125], -v[132:133]
	v_mul_f64_e32 v[128:129], v[128:129], v[126:127]
	ds_load_b128 v[132:135], v213 offset:6912
	v_add_f64_e64 v[191:192], v[171:172], -v[191:192]
	v_fma_f64 v[193:194], v[130:131], v[124:125], v[128:129]
	global_load_b128 v[128:131], v[144:145], off offset:640
	v_fma_f64 v[155:156], v[171:172], 2.0, -v[191:192]
	v_add_f64_e64 v[193:194], v[173:174], -v[193:194]
	v_add_f64_e32 v[191:192], v[189:190], v[191:192]
	s_delay_alu instid0(VALU_DEP_3) | instskip(NEXT) | instid1(VALU_DEP_3)
	v_add_f64_e64 v[229:230], v[225:226], -v[155:156]
	v_fma_f64 v[157:158], v[173:174], 2.0, -v[193:194]
	v_add_f64_e64 v[193:194], v[187:188], -v[193:194]
	s_delay_alu instid0(VALU_DEP_2) | instskip(SKIP_2) | instid1(VALU_DEP_1)
	v_add_f64_e64 v[231:232], v[227:228], -v[157:158]
	s_wait_loadcnt_dscnt 0x0
	v_mul_f64_e32 v[136:137], v[134:135], v[130:131]
	v_fma_f64 v[195:196], v[132:133], v[128:129], -v[136:137]
	v_mul_f64_e32 v[132:133], v[132:133], v[130:131]
	ds_load_b128 v[136:139], v213 offset:9984
	v_add_f64_e64 v[195:196], v[151:152], -v[195:196]
	v_fma_f64 v[197:198], v[134:135], v[128:129], v[132:133]
	global_load_b128 v[132:135], v[144:145], off offset:704
	v_fma_f64 v[171:172], v[151:152], 2.0, -v[195:196]
	v_add_f64_e64 v[197:198], v[153:154], -v[197:198]
	s_delay_alu instid0(VALU_DEP_1) | instskip(SKIP_2) | instid1(VALU_DEP_1)
	v_fma_f64 v[173:174], v[153:154], 2.0, -v[197:198]
	s_wait_loadcnt_dscnt 0x0
	v_mul_f64_e32 v[140:141], v[138:139], v[134:135]
	v_fma_f64 v[199:200], v[136:137], v[132:133], -v[140:141]
	v_mul_f64_e32 v[136:137], v[136:137], v[134:135]
	ds_load_b128 v[140:143], v213 offset:8448
	v_add_f64_e64 v[199:200], v[167:168], -v[199:200]
	v_fma_f64 v[201:202], v[138:139], v[132:133], v[136:137]
	global_load_b128 v[136:139], v[144:145], off offset:672
	v_fma_f64 v[151:152], v[167:168], 2.0, -v[199:200]
	v_add_f64_e64 v[201:202], v[169:170], -v[201:202]
	v_add_f64_e32 v[199:200], v[197:198], v[199:200]
	s_delay_alu instid0(VALU_DEP_3) | instskip(NEXT) | instid1(VALU_DEP_3)
	v_add_f64_e64 v[233:234], v[171:172], -v[151:152]
	v_fma_f64 v[153:154], v[169:170], 2.0, -v[201:202]
	v_add_f64_e64 v[201:202], v[195:196], -v[201:202]
	s_delay_alu instid0(VALU_DEP_2) | instskip(SKIP_2) | instid1(VALU_DEP_1)
	v_add_f64_e64 v[235:236], v[173:174], -v[153:154]
	s_wait_loadcnt_dscnt 0x0
	v_mul_f64_e32 v[146:147], v[142:143], v[138:139]
	v_fma_f64 v[203:204], v[140:141], v[136:137], -v[146:147]
	v_mul_f64_e32 v[140:141], v[140:141], v[138:139]
	s_delay_alu instid0(VALU_DEP_2) | instskip(NEXT) | instid1(VALU_DEP_2)
	v_add_f64_e64 v[203:204], v[159:160], -v[203:204]
	v_fma_f64 v[205:206], v[142:143], v[136:137], v[140:141]
	global_load_b128 v[140:143], v[144:145], off offset:736
	ds_load_b128 v[144:147], v213 offset:11520
	v_fma_f64 v[167:168], v[159:160], 2.0, -v[203:204]
	v_add_f64_e64 v[205:206], v[161:162], -v[205:206]
	s_delay_alu instid0(VALU_DEP_1) | instskip(SKIP_2) | instid1(VALU_DEP_1)
	v_fma_f64 v[169:170], v[161:162], 2.0, -v[205:206]
	s_wait_loadcnt_dscnt 0x0
	v_mul_f64_e32 v[207:208], v[144:145], v[142:143]
	v_fma_f64 v[207:208], v[146:147], v[140:141], v[207:208]
	v_mul_f64_e32 v[146:147], v[146:147], v[142:143]
	s_delay_alu instid0(VALU_DEP_2) | instskip(NEXT) | instid1(VALU_DEP_2)
	v_add_f64_e64 v[207:208], v[177:178], -v[207:208]
	v_fma_f64 v[215:216], v[144:145], v[140:141], -v[146:147]
	ds_load_b128 v[144:147], v213
	s_wait_dscnt 0x0
	v_add_f64_e64 v[181:182], v[146:147], -v[181:182]
	v_add_f64_e64 v[179:180], v[144:145], -v[179:180]
	v_fma_f64 v[159:160], v[177:178], 2.0, -v[207:208]
	v_add_f64_e64 v[215:216], v[175:176], -v[215:216]
	v_add_f64_e64 v[207:208], v[203:204], -v[207:208]
	v_fma_f64 v[223:224], v[146:147], 2.0, -v[181:182]
	v_fma_f64 v[146:147], v[165:166], 2.0, -v[185:186]
	;; [unrolled: 1-line block ×4, first 2 shown]
	v_add_f64_e64 v[185:186], v[179:180], -v[185:186]
	v_add_f64_e32 v[183:184], v[181:182], v[183:184]
	v_add_f64_e64 v[237:238], v[169:170], -v[159:160]
	v_fma_f64 v[161:162], v[175:176], 2.0, -v[215:216]
	v_add_f64_e32 v[215:216], v[205:206], v[215:216]
	v_add_f64_e64 v[177:178], v[223:224], -v[146:147]
	v_add_f64_e64 v[175:176], v[217:218], -v[144:145]
	;; [unrolled: 1-line block ×4, first 2 shown]
	v_fma_f64 v[169:170], v[169:170], 2.0, -v[237:238]
	v_add_f64_e32 v[165:166], v[177:178], v[229:230]
	v_add_f64_e64 v[163:164], v[175:176], -v[231:232]
	v_fma_f64 v[155:156], v[233:234], 2.0, -v[151:152]
	v_add_f64_e32 v[153:154], v[235:236], v[239:240]
	v_fma_f64 v[167:168], v[167:168], 2.0, -v[239:240]
	v_fma_f64 v[243:244], v[177:178], 2.0, -v[165:166]
	;; [unrolled: 1-line block ×3, first 2 shown]
	v_fma_f64 v[144:145], v[151:152], s[10:11], v[163:164]
	v_fma_f64 v[241:242], v[175:176], 2.0, -v[163:164]
	v_fma_f64 v[175:176], v[217:218], 2.0, -v[175:176]
	;; [unrolled: 1-line block ×5, first 2 shown]
	v_fma_f64 v[146:147], v[153:154], s[10:11], v[165:166]
	v_fma_f64 v[144:145], v[153:154], s[2:3], v[144:145]
	s_delay_alu instid0(VALU_DEP_2) | instskip(SKIP_2) | instid1(VALU_DEP_4)
	v_fma_f64 v[146:147], v[151:152], s[10:11], v[146:147]
	v_fma_f64 v[151:152], v[235:236], 2.0, -v[153:154]
	v_fma_f64 v[153:154], v[155:156], s[2:3], v[241:242]
	v_fma_f64 v[163:164], v[163:164], 2.0, -v[144:145]
	s_delay_alu instid0(VALU_DEP_4) | instskip(NEXT) | instid1(VALU_DEP_4)
	v_fma_f64 v[165:166], v[165:166], 2.0, -v[146:147]
	v_fma_f64 v[157:158], v[151:152], s[2:3], v[243:244]
	s_delay_alu instid0(VALU_DEP_4) | instskip(NEXT) | instid1(VALU_DEP_2)
	v_fma_f64 v[151:152], v[151:152], s[2:3], v[153:154]
	v_fma_f64 v[153:154], v[155:156], s[10:11], v[157:158]
	;; [unrolled: 1-line block ×3, first 2 shown]
	s_delay_alu instid0(VALU_DEP_1) | instskip(SKIP_1) | instid1(VALU_DEP_2)
	v_fma_f64 v[245:246], v[191:192], s[2:3], v[155:156]
	v_fma_f64 v[155:156], v[191:192], s[10:11], v[183:184]
	v_fma_f64 v[251:252], v[185:186], 2.0, -v[245:246]
	s_delay_alu instid0(VALU_DEP_2) | instskip(SKIP_1) | instid1(VALU_DEP_2)
	v_fma_f64 v[247:248], v[193:194], s[10:11], v[155:156]
	v_fma_f64 v[155:156], v[207:208], s[10:11], v[201:202]
	v_fma_f64 v[253:254], v[183:184], 2.0, -v[247:248]
	s_delay_alu instid0(VALU_DEP_2) | instskip(SKIP_2) | instid1(VALU_DEP_3)
	v_fma_f64 v[159:160], v[215:216], s[2:3], v[155:156]
	v_fma_f64 v[155:156], v[215:216], s[10:11], v[199:200]
	v_fma_f64 v[183:184], v[197:198], 2.0, -v[199:200]
	v_fma_f64 v[249:250], v[201:202], 2.0, -v[159:160]
	s_delay_alu instid0(VALU_DEP_3) | instskip(SKIP_1) | instid1(VALU_DEP_2)
	v_fma_f64 v[161:162], v[207:208], s[10:11], v[155:156]
	v_fma_f64 v[155:156], v[159:160], s[18:19], v[245:246]
	;; [unrolled: 1-line block ×3, first 2 shown]
	s_delay_alu instid0(VALU_DEP_2) | instskip(SKIP_1) | instid1(VALU_DEP_2)
	v_fma_f64 v[155:156], v[161:162], s[12:13], v[155:156]
	s_wait_alu 0xfffe
	v_fma_f64 v[157:158], v[159:160], s[16:17], v[157:158]
	v_fma_f64 v[159:160], v[199:200], 2.0, -v[161:162]
	v_fma_f64 v[161:162], v[249:250], s[12:13], v[251:252]
	ds_store_b128 v213, v[144:147] offset:10752
	v_fma_f64 v[144:145], v[245:246], 2.0, -v[155:156]
	ds_store_b128 v213, v[155:158] offset:11520
	v_fma_f64 v[209:210], v[159:160], s[12:13], v[253:254]
	v_fma_f64 v[159:160], v[159:160], s[14:15], v[161:162]
	v_fma_f64 v[146:147], v[247:248], 2.0, -v[157:158]
	v_fma_f64 v[155:156], v[225:226], 2.0, -v[229:230]
	;; [unrolled: 1-line block ×3, first 2 shown]
	v_add_f64_e64 v[227:228], v[217:218], -v[169:170]
	v_fma_f64 v[161:162], v[249:250], s[18:19], v[209:210]
	v_fma_f64 v[209:210], v[171:172], 2.0, -v[233:234]
	v_fma_f64 v[171:172], v[179:180], 2.0, -v[185:186]
	v_add_f64_e64 v[223:224], v[175:176], -v[155:156]
	v_add_f64_e64 v[225:226], v[177:178], -v[157:158]
	v_fma_f64 v[179:180], v[187:188], 2.0, -v[193:194]
	v_fma_f64 v[185:186], v[205:206], 2.0, -v[215:216]
	v_add_f64_e64 v[229:230], v[209:210], -v[167:168]
	v_add_f64_e64 v[155:156], v[223:224], -v[227:228]
	s_delay_alu instid0(VALU_DEP_2) | instskip(NEXT) | instid1(VALU_DEP_2)
	v_add_f64_e32 v[157:158], v[225:226], v[229:230]
	v_fma_f64 v[167:168], v[223:224], 2.0, -v[155:156]
	s_delay_alu instid0(VALU_DEP_2)
	v_fma_f64 v[169:170], v[225:226], 2.0, -v[157:158]
	ds_store_b128 v213, v[155:158] offset:9216
	v_fma_f64 v[155:156], v[195:196], 2.0, -v[201:202]
	v_fma_f64 v[157:158], v[203:204], 2.0, -v[207:208]
	ds_store_b128 v213, v[163:166] offset:4608
	ds_store_b128 v213, v[144:147] offset:5376
	v_fma_f64 v[144:145], v[241:242], 2.0, -v[151:152]
	v_fma_f64 v[146:147], v[243:244], 2.0, -v[153:154]
	ds_store_b128 v213, v[151:154] offset:7680
	ds_store_b128 v213, v[159:162] offset:8448
	v_fma_f64 v[151:152], v[251:252], 2.0, -v[159:160]
	v_fma_f64 v[153:154], v[253:254], 2.0, -v[161:162]
	;; [unrolled: 1-line block ×4, first 2 shown]
	v_lshlrev_b32_e32 v207, 4, v214
	v_fma_f64 v[187:188], v[157:158], s[2:3], v[155:156]
	s_delay_alu instid0(VALU_DEP_1) | instskip(SKIP_1) | instid1(VALU_DEP_1)
	v_fma_f64 v[187:188], v[185:186], s[2:3], v[187:188]
	v_fma_f64 v[185:186], v[185:186], s[2:3], v[183:184]
	v_fma_f64 v[185:186], v[157:158], s[10:11], v[185:186]
	v_fma_f64 v[157:158], v[181:182], s[2:3], v[173:174]
	s_delay_alu instid0(VALU_DEP_2) | instskip(NEXT) | instid1(VALU_DEP_2)
	v_fma_f64 v[183:184], v[183:184], 2.0, -v[185:186]
	v_fma_f64 v[189:190], v[179:180], s[10:11], v[157:158]
	v_fma_f64 v[157:158], v[179:180], s[2:3], v[171:172]
	s_delay_alu instid0(VALU_DEP_1) | instskip(SKIP_1) | instid1(VALU_DEP_4)
	v_fma_f64 v[179:180], v[181:182], s[2:3], v[157:158]
	v_fma_f64 v[181:182], v[155:156], 2.0, -v[187:188]
	v_fma_f64 v[155:156], v[185:186], s[16:17], v[189:190]
	s_delay_alu instid0(VALU_DEP_3) | instskip(NEXT) | instid1(VALU_DEP_2)
	v_fma_f64 v[191:192], v[187:188], s[16:17], v[179:180]
	v_fma_f64 v[157:158], v[187:188], s[18:19], v[155:156]
	v_fma_f64 v[187:188], v[173:174], 2.0, -v[189:190]
	s_delay_alu instid0(VALU_DEP_3) | instskip(SKIP_1) | instid1(VALU_DEP_4)
	v_fma_f64 v[155:156], v[185:186], s[14:15], v[191:192]
	v_fma_f64 v[185:186], v[171:172], 2.0, -v[179:180]
	v_fma_f64 v[161:162], v[189:190], 2.0, -v[157:158]
	ds_store_b128 v213, v[155:158] offset:9984
	ds_store_b128 v213, v[167:170] offset:3072
	v_fma_f64 v[159:160], v[179:180], 2.0, -v[155:156]
	v_fma_f64 v[155:156], v[209:210], 2.0, -v[229:230]
	;; [unrolled: 1-line block ×3, first 2 shown]
	v_fma_f64 v[171:172], v[181:182], s[14:15], v[185:186]
	v_fma_f64 v[173:174], v[183:184], s[14:15], v[187:188]
	s_delay_alu instid0(VALU_DEP_4) | instskip(NEXT) | instid1(VALU_DEP_4)
	v_add_f64_e64 v[155:156], v[163:164], -v[155:156]
	v_add_f64_e64 v[157:158], v[165:166], -v[157:158]
	s_delay_alu instid0(VALU_DEP_4) | instskip(NEXT) | instid1(VALU_DEP_4)
	v_fma_f64 v[171:172], v[183:184], s[12:13], v[171:172]
	v_fma_f64 v[173:174], v[181:182], s[16:17], v[173:174]
	ds_store_b128 v213, v[155:158] offset:6144
	ds_store_b128 v213, v[144:147] offset:1536
	ds_store_b128 v213, v[151:154] offset:2304
	ds_store_b128 v213, v[159:162] offset:3840
	v_fma_f64 v[163:164], v[163:164], 2.0, -v[155:156]
	v_fma_f64 v[165:166], v[165:166], 2.0, -v[157:158]
	;; [unrolled: 1-line block ×4, first 2 shown]
	ds_store_b128 v213, v[171:174] offset:6912
	ds_store_b128 v213, v[163:166]
	ds_store_b128 v213, v[144:147] offset:768
	global_wb scope:SCOPE_SE
	s_wait_dscnt 0x0
	s_barrier_signal -1
	s_barrier_wait -1
	global_inv scope:SCOPE_SE
	global_load_b128 v[144:147], v[148:149], off offset:12288
	ds_load_b128 v[151:154], v213
	ds_load_b128 v[161:164], v213 offset:1536
	ds_load_b128 v[173:176], v213 offset:3072
	;; [unrolled: 1-line block ×14, first 2 shown]
	global_load_b128 v[223:226], v207, s[8:9] offset:7680
	s_wait_loadcnt_dscnt 0x10e
	v_mul_f64_e32 v[148:149], v[153:154], v[146:147]
	v_mul_f64_e32 v[155:156], v[151:152], v[146:147]
	s_delay_alu instid0(VALU_DEP_2) | instskip(NEXT) | instid1(VALU_DEP_2)
	v_fma_f64 v[146:147], v[151:152], v[144:145], -v[148:149]
	v_fma_f64 v[148:149], v[153:154], v[144:145], v[155:156]
	global_load_b128 v[151:154], v207, s[8:9] offset:768
	ds_load_b128 v[155:158], v213 offset:768
	s_wait_loadcnt_dscnt 0x0
	v_mul_f64_e32 v[144:145], v[157:158], v[153:154]
	v_mul_f64_e32 v[159:160], v[155:156], v[153:154]
	s_delay_alu instid0(VALU_DEP_2) | instskip(NEXT) | instid1(VALU_DEP_2)
	v_fma_f64 v[153:154], v[155:156], v[151:152], -v[144:145]
	v_fma_f64 v[155:156], v[157:158], v[151:152], v[159:160]
	global_load_b128 v[157:160], v207, s[8:9] offset:1536
	s_wait_loadcnt 0x0
	v_mul_f64_e32 v[144:145], v[163:164], v[159:160]
	v_mul_f64_e32 v[151:152], v[161:162], v[159:160]
	s_delay_alu instid0(VALU_DEP_2) | instskip(NEXT) | instid1(VALU_DEP_2)
	v_fma_f64 v[159:160], v[161:162], v[157:158], -v[144:145]
	v_fma_f64 v[161:162], v[163:164], v[157:158], v[151:152]
	global_load_b128 v[163:166], v207, s[8:9] offset:2304
	s_wait_loadcnt 0x0
	;; [unrolled: 7-line block ×8, first 2 shown]
	v_mul_f64_e32 v[144:145], v[205:206], v[201:202]
	v_mul_f64_e32 v[151:152], v[203:204], v[201:202]
	s_delay_alu instid0(VALU_DEP_2) | instskip(NEXT) | instid1(VALU_DEP_2)
	v_fma_f64 v[201:202], v[203:204], v[199:200], -v[144:145]
	v_fma_f64 v[203:204], v[205:206], v[199:200], v[151:152]
	v_mul_f64_e32 v[144:145], v[229:230], v[225:226]
	v_mul_f64_e32 v[151:152], v[227:228], v[225:226]
	s_delay_alu instid0(VALU_DEP_2) | instskip(NEXT) | instid1(VALU_DEP_2)
	v_fma_f64 v[225:226], v[227:228], v[223:224], -v[144:145]
	v_fma_f64 v[227:228], v[229:230], v[223:224], v[151:152]
	global_load_b128 v[229:232], v207, s[8:9] offset:8448
	s_wait_loadcnt 0x0
	v_mul_f64_e32 v[144:145], v[235:236], v[231:232]
	v_mul_f64_e32 v[151:152], v[233:234], v[231:232]
	s_delay_alu instid0(VALU_DEP_2) | instskip(NEXT) | instid1(VALU_DEP_2)
	v_fma_f64 v[231:232], v[233:234], v[229:230], -v[144:145]
	v_fma_f64 v[233:234], v[235:236], v[229:230], v[151:152]
	global_load_b128 v[235:238], v207, s[8:9] offset:9216
	s_wait_loadcnt 0x0
	;; [unrolled: 7-line block ×3, first 2 shown]
	v_mul_f64_e32 v[144:145], v[247:248], v[243:244]
	v_mul_f64_e32 v[151:152], v[245:246], v[243:244]
	s_delay_alu instid0(VALU_DEP_2) | instskip(NEXT) | instid1(VALU_DEP_2)
	v_fma_f64 v[243:244], v[245:246], v[241:242], -v[144:145]
	v_fma_f64 v[245:246], v[247:248], v[241:242], v[151:152]
	s_clause 0x1
	global_load_b128 v[247:250], v207, s[8:9] offset:10752
	global_load_b128 v[205:208], v207, s[8:9] offset:11520
	s_wait_loadcnt 0x1
	v_mul_f64_e32 v[144:145], v[253:254], v[249:250]
	v_mul_f64_e32 v[151:152], v[251:252], v[249:250]
	s_delay_alu instid0(VALU_DEP_2) | instskip(NEXT) | instid1(VALU_DEP_2)
	v_fma_f64 v[249:250], v[251:252], v[247:248], -v[144:145]
	v_fma_f64 v[251:252], v[253:254], v[247:248], v[151:152]
	s_wait_loadcnt 0x0
	v_mul_f64_e32 v[144:145], v[217:218], v[207:208]
	v_mul_f64_e32 v[151:152], v[215:216], v[207:208]
	s_delay_alu instid0(VALU_DEP_2) | instskip(NEXT) | instid1(VALU_DEP_2)
	v_fma_f64 v[215:216], v[215:216], v[205:206], -v[144:145]
	v_fma_f64 v[217:218], v[217:218], v[205:206], v[151:152]
	ds_store_b128 v213, v[146:149]
	ds_store_b128 v213, v[153:156] offset:768
	ds_store_b128 v213, v[159:162] offset:1536
	ds_store_b128 v213, v[165:168] offset:2304
	ds_store_b128 v213, v[171:174] offset:3072
	ds_store_b128 v213, v[177:180] offset:3840
	ds_store_b128 v213, v[183:186] offset:4608
	ds_store_b128 v213, v[189:192] offset:5376
	ds_store_b128 v213, v[195:198] offset:6144
	ds_store_b128 v213, v[201:204] offset:6912
	ds_store_b128 v213, v[225:228] offset:7680
	ds_store_b128 v213, v[231:234] offset:8448
	ds_store_b128 v213, v[237:240] offset:9216
	ds_store_b128 v213, v[243:246] offset:9984
	ds_store_b128 v213, v[249:252] offset:10752
	ds_store_b128 v213, v[215:218] offset:11520
	global_wb scope:SCOPE_SE
	s_wait_dscnt 0x0
	s_barrier_signal -1
	s_barrier_wait -1
	global_inv scope:SCOPE_SE
	ds_load_b128 v[144:147], v213 offset:6144
	ds_load_b128 v[151:154], v213
	s_wait_dscnt 0x0
	v_add_f64_e64 v[148:149], v[151:152], -v[144:145]
	v_add_f64_e64 v[183:184], v[153:154], -v[146:147]
	ds_load_b128 v[144:147], v213 offset:3072
	ds_load_b128 v[155:158], v213 offset:9216
	s_wait_dscnt 0x0
	v_add_f64_e64 v[185:186], v[144:145], -v[155:156]
	v_add_f64_e64 v[187:188], v[146:147], -v[157:158]
	ds_load_b128 v[155:158], v213 offset:1536
	ds_load_b128 v[159:162], v213 offset:7680
	v_fma_f64 v[209:210], v[151:152], 2.0, -v[148:149]
	v_fma_f64 v[215:216], v[153:154], 2.0, -v[183:184]
	s_wait_dscnt 0x0
	v_add_f64_e64 v[189:190], v[155:156], -v[159:160]
	v_add_f64_e64 v[191:192], v[157:158], -v[161:162]
	ds_load_b128 v[159:162], v213 offset:4608
	ds_load_b128 v[163:166], v213 offset:10752
	v_fma_f64 v[144:145], v[144:145], 2.0, -v[185:186]
	v_fma_f64 v[146:147], v[146:147], 2.0, -v[187:188]
	v_add_f64_e32 v[187:188], v[148:149], v[187:188]
	v_add_f64_e64 v[185:186], v[183:184], -v[185:186]
	s_wait_dscnt 0x0
	v_add_f64_e64 v[193:194], v[159:160], -v[163:164]
	v_add_f64_e64 v[195:196], v[161:162], -v[165:166]
	ds_load_b128 v[163:166], v213 offset:768
	ds_load_b128 v[167:170], v213 offset:6912
	v_fma_f64 v[217:218], v[155:156], 2.0, -v[189:190]
	v_fma_f64 v[223:224], v[157:158], 2.0, -v[191:192]
	s_wait_dscnt 0x0
	v_add_f64_e64 v[197:198], v[163:164], -v[167:168]
	v_add_f64_e64 v[199:200], v[165:166], -v[169:170]
	ds_load_b128 v[167:170], v213 offset:3840
	ds_load_b128 v[171:174], v213 offset:9984
	v_fma_f64 v[148:149], v[148:149], 2.0, -v[187:188]
	v_fma_f64 v[151:152], v[159:160], 2.0, -v[193:194]
	;; [unrolled: 1-line block ×3, first 2 shown]
	v_add_f64_e32 v[195:196], v[189:190], v[195:196]
	v_add_f64_e64 v[193:194], v[191:192], -v[193:194]
	s_wait_dscnt 0x0
	v_add_f64_e64 v[201:202], v[167:168], -v[171:172]
	v_add_f64_e64 v[203:204], v[169:170], -v[173:174]
	ds_load_b128 v[171:174], v213 offset:2304
	ds_load_b128 v[175:178], v213 offset:8448
	v_fma_f64 v[225:226], v[163:164], 2.0, -v[197:198]
	v_fma_f64 v[227:228], v[165:166], 2.0, -v[199:200]
	s_wait_dscnt 0x0
	v_add_f64_e64 v[205:206], v[171:172], -v[175:176]
	v_add_f64_e64 v[207:208], v[173:174], -v[177:178]
	ds_load_b128 v[175:178], v213 offset:5376
	ds_load_b128 v[179:182], v213 offset:11520
	global_wb scope:SCOPE_SE
	s_wait_dscnt 0x0
	s_barrier_signal -1
	s_barrier_wait -1
	global_inv scope:SCOPE_SE
	v_fma_f64 v[155:156], v[167:168], 2.0, -v[201:202]
	v_fma_f64 v[157:158], v[169:170], 2.0, -v[203:204]
	v_add_f64_e32 v[203:204], v[197:198], v[203:204]
	v_add_f64_e64 v[201:202], v[199:200], -v[201:202]
	v_add_f64_e64 v[181:182], v[177:178], -v[181:182]
	;; [unrolled: 1-line block ×3, first 2 shown]
	v_fma_f64 v[167:168], v[171:172], 2.0, -v[205:206]
	v_fma_f64 v[169:170], v[173:174], 2.0, -v[207:208]
	v_add_f64_e64 v[171:172], v[209:210], -v[144:145]
	v_add_f64_e64 v[173:174], v[215:216], -v[146:147]
	;; [unrolled: 1-line block ×4, first 2 shown]
	v_fma_f64 v[159:160], v[177:178], 2.0, -v[181:182]
	v_fma_f64 v[161:162], v[175:176], 2.0, -v[179:180]
	v_add_f64_e64 v[175:176], v[217:218], -v[151:152]
	v_add_f64_e64 v[177:178], v[223:224], -v[153:154]
	v_add_f64_e32 v[181:182], v[205:206], v[181:182]
	v_add_f64_e64 v[179:180], v[207:208], -v[179:180]
	v_fma_f64 v[209:210], v[209:210], 2.0, -v[171:172]
	v_fma_f64 v[215:216], v[215:216], 2.0, -v[173:174]
	v_add_f64_e64 v[233:234], v[169:170], -v[159:160]
	v_add_f64_e64 v[235:236], v[167:168], -v[161:162]
	;; [unrolled: 1-line block ×3, first 2 shown]
	v_add_f64_e32 v[163:164], v[171:172], v[177:178]
	s_delay_alu instid0(VALU_DEP_4) | instskip(NEXT) | instid1(VALU_DEP_4)
	v_add_f64_e32 v[144:145], v[229:230], v[233:234]
	v_add_f64_e64 v[146:147], v[231:232], -v[235:236]
	s_delay_alu instid0(VALU_DEP_4) | instskip(NEXT) | instid1(VALU_DEP_4)
	v_fma_f64 v[239:240], v[173:174], 2.0, -v[165:166]
	v_fma_f64 v[237:238], v[171:172], 2.0, -v[163:164]
	;; [unrolled: 1-line block ×7, first 2 shown]
	v_fma_f64 v[151:152], v[144:145], s[10:11], v[163:164]
	v_fma_f64 v[153:154], v[146:147], s[10:11], v[165:166]
	s_delay_alu instid0(VALU_DEP_2) | instskip(NEXT) | instid1(VALU_DEP_2)
	v_fma_f64 v[151:152], v[146:147], s[10:11], v[151:152]
	v_fma_f64 v[153:154], v[144:145], s[2:3], v[153:154]
	v_fma_f64 v[146:147], v[231:232], 2.0, -v[146:147]
	v_fma_f64 v[144:145], v[229:230], 2.0, -v[144:145]
	s_delay_alu instid0(VALU_DEP_4) | instskip(NEXT) | instid1(VALU_DEP_4)
	v_fma_f64 v[163:164], v[163:164], 2.0, -v[151:152]
	v_fma_f64 v[165:166], v[165:166], 2.0, -v[153:154]
	s_delay_alu instid0(VALU_DEP_4)
	v_fma_f64 v[157:158], v[146:147], s[2:3], v[239:240]
	ds_store_b128 v150, v[151:154] offset:224
	v_fma_f64 v[151:152], v[217:218], 2.0, -v[175:176]
	v_fma_f64 v[153:154], v[223:224], 2.0, -v[177:178]
	;; [unrolled: 1-line block ×4, first 2 shown]
	v_fma_f64 v[155:156], v[144:145], s[2:3], v[237:238]
	v_fma_f64 v[157:158], v[144:145], s[2:3], v[157:158]
	v_fma_f64 v[144:145], v[195:196], s[10:11], v[187:188]
	v_add_f64_e64 v[217:218], v[209:210], -v[151:152]
	v_add_f64_e64 v[223:224], v[215:216], -v[153:154]
	;; [unrolled: 1-line block ×4, first 2 shown]
	v_fma_f64 v[155:156], v[146:147], s[10:11], v[155:156]
	ds_store_b128 v150, v[163:166] offset:96
	v_fma_f64 v[241:242], v[193:194], s[10:11], v[144:145]
	v_fma_f64 v[144:145], v[193:194], s[10:11], v[185:186]
	v_add_f64_e64 v[153:154], v[223:224], -v[227:228]
	v_add_f64_e32 v[151:152], v[217:218], v[225:226]
	ds_store_b128 v150, v[155:158] offset:160
	v_fma_f64 v[247:248], v[187:188], 2.0, -v[241:242]
	v_fma_f64 v[243:244], v[195:196], s[2:3], v[144:145]
	v_fma_f64 v[144:145], v[181:182], s[10:11], v[203:204]
	v_fma_f64 v[169:170], v[223:224], 2.0, -v[153:154]
	v_fma_f64 v[167:168], v[217:218], 2.0, -v[151:152]
	ds_store_b128 v150, v[151:154] offset:192
	v_fma_f64 v[151:152], v[197:198], 2.0, -v[203:204]
	v_fma_f64 v[153:154], v[205:206], 2.0, -v[181:182]
	;; [unrolled: 1-line block ×3, first 2 shown]
	v_fma_f64 v[159:160], v[179:180], s[10:11], v[144:145]
	v_fma_f64 v[144:145], v[179:180], s[10:11], v[201:202]
	v_fma_f64 v[179:180], v[207:208], 2.0, -v[179:180]
	v_fma_f64 v[185:186], v[153:154], s[2:3], v[151:152]
	s_delay_alu instid0(VALU_DEP_4) | instskip(NEXT) | instid1(VALU_DEP_4)
	v_fma_f64 v[245:246], v[203:204], 2.0, -v[159:160]
	v_fma_f64 v[161:162], v[181:182], s[2:3], v[144:145]
	v_fma_f64 v[181:182], v[191:192], 2.0, -v[193:194]
	v_fma_f64 v[144:145], v[159:160], s[18:19], v[241:242]
	v_fma_f64 v[185:186], v[179:180], s[10:11], v[185:186]
	;; [unrolled: 1-line block ×4, first 2 shown]
	s_delay_alu instid0(VALU_DEP_4) | instskip(NEXT) | instid1(VALU_DEP_3)
	v_fma_f64 v[144:145], v[161:162], s[16:17], v[144:145]
	v_fma_f64 v[179:180], v[153:154], s[2:3], v[179:180]
	;; [unrolled: 1-line block ×3, first 2 shown]
	s_delay_alu instid0(VALU_DEP_4)
	v_fma_f64 v[146:147], v[159:160], s[12:13], v[146:147]
	v_fma_f64 v[159:160], v[201:202], 2.0, -v[161:162]
	v_fma_f64 v[161:162], v[245:246], s[12:13], v[247:248]
	v_fma_f64 v[163:164], v[241:242], 2.0, -v[144:145]
	v_fma_f64 v[187:188], v[173:174], s[2:3], v[153:154]
	v_fma_f64 v[153:154], v[173:174], s[2:3], v[148:149]
	v_fma_f64 v[173:174], v[151:152], 2.0, -v[185:186]
	v_fma_f64 v[165:166], v[243:244], 2.0, -v[146:147]
	v_fma_f64 v[251:252], v[159:160], s[12:13], v[249:250]
	v_fma_f64 v[159:160], v[159:160], s[18:19], v[161:162]
	;; [unrolled: 1-line block ×4, first 2 shown]
	s_delay_alu instid0(VALU_DEP_4)
	v_fma_f64 v[161:162], v[245:246], s[14:15], v[251:252]
	ds_store_b128 v150, v[163:166] offset:112
	v_fma_f64 v[163:164], v[237:238], 2.0, -v[155:156]
	v_fma_f64 v[165:166], v[239:240], 2.0, -v[157:158]
	;; [unrolled: 1-line block ×3, first 2 shown]
	v_fma_f64 v[153:154], v[185:186], s[14:15], v[151:152]
	v_fma_f64 v[189:190], v[185:186], s[16:17], v[181:182]
	v_fma_f64 v[148:149], v[148:149], 2.0, -v[181:182]
	ds_store_b128 v150, v[159:162] offset:176
	v_fma_f64 v[157:158], v[249:250], 2.0, -v[161:162]
	v_fma_f64 v[161:162], v[187:188], 2.0, -v[153:154]
	v_fma_f64 v[151:152], v[179:180], s[18:19], v[189:190]
	v_fma_f64 v[179:180], v[183:184], 2.0, -v[179:180]
	v_fma_f64 v[183:184], v[171:172], 2.0, -v[187:188]
	ds_store_b128 v150, v[151:154] offset:208
	ds_store_b128 v150, v[167:170] offset:64
	v_fma_f64 v[159:160], v[181:182], 2.0, -v[151:152]
	v_fma_f64 v[167:168], v[209:210], 2.0, -v[217:218]
	;; [unrolled: 1-line block ×5, first 2 shown]
	v_fma_f64 v[171:172], v[173:174], s[14:15], v[148:149]
	v_fma_f64 v[185:186], v[179:180], s[14:15], v[183:184]
	s_delay_alu instid0(VALU_DEP_4) | instskip(NEXT) | instid1(VALU_DEP_4)
	v_add_f64_e64 v[151:152], v[167:168], -v[151:152]
	v_add_f64_e64 v[153:154], v[169:170], -v[153:154]
	s_delay_alu instid0(VALU_DEP_4) | instskip(NEXT) | instid1(VALU_DEP_4)
	v_fma_f64 v[171:172], v[179:180], s[16:17], v[171:172]
	v_fma_f64 v[173:174], v[173:174], s[12:13], v[185:186]
	ds_store_b128 v150, v[151:154] offset:128
	ds_store_b128 v150, v[163:166] offset:32
	ds_store_b128 v150, v[155:158] offset:48
	ds_store_b128 v150, v[159:162] offset:80
	v_fma_f64 v[167:168], v[167:168], 2.0, -v[151:152]
	v_fma_f64 v[169:170], v[169:170], 2.0, -v[153:154]
	;; [unrolled: 1-line block ×4, first 2 shown]
	ds_store_b128 v150, v[171:174] offset:144
	ds_store_b128 v150, v[167:170]
	ds_store_b128 v150, v[151:154] offset:16
	ds_store_b128 v150, v[144:147] offset:240
	global_wb scope:SCOPE_SE
	s_wait_dscnt 0x0
	s_barrier_signal -1
	s_barrier_wait -1
	global_inv scope:SCOPE_SE
	ds_load_b128 v[180:183], v213
	ds_load_b128 v[172:175], v213 offset:768
	ds_load_b128 v[184:187], v213 offset:8192
	;; [unrolled: 1-line block ×14, first 2 shown]
	s_and_saveexec_b32 s2, vcc_lo
	s_cbranch_execz .LBB0_7
; %bb.6:
	ds_load_b128 v[144:147], v213 offset:3840
	ds_load_b128 v[88:91], v213 offset:7936
	;; [unrolled: 1-line block ×3, first 2 shown]
.LBB0_7:
	s_wait_alu 0xfffe
	s_or_b32 exec_lo, exec_lo, s2
	s_wait_dscnt 0x4
	v_mul_f64_e32 v[208:209], v[66:67], v[206:207]
	s_mov_b32 s2, 0xe8584caa
	s_mov_b32 s3, 0xbfebb67a
	;; [unrolled: 1-line block ×3, first 2 shown]
	s_wait_alu 0xfffe
	s_mov_b32 s8, s2
	global_wb scope:SCOPE_SE
	s_wait_dscnt 0x0
	s_barrier_signal -1
	s_barrier_wait -1
	global_inv scope:SCOPE_SE
	v_fma_f64 v[208:209], v[211:212], v[204:205], v[208:209]
	v_mul_f64_e32 v[204:205], v[66:67], v[204:205]
	s_delay_alu instid0(VALU_DEP_1) | instskip(SKIP_1) | instid1(VALU_DEP_1)
	v_fma_f64 v[204:205], v[211:212], v[206:207], -v[204:205]
	v_mul_f64_e32 v[206:207], v[66:67], v[202:203]
	v_fma_f64 v[206:207], v[211:212], v[200:201], v[206:207]
	v_mul_f64_e32 v[200:201], v[66:67], v[200:201]
	s_delay_alu instid0(VALU_DEP_1) | instskip(SKIP_1) | instid1(VALU_DEP_1)
	v_fma_f64 v[200:201], v[211:212], v[202:203], -v[200:201]
	v_mul_f64_e32 v[202:203], v[66:67], v[194:195]
	v_fma_f64 v[202:203], v[211:212], v[192:193], v[202:203]
	v_mul_f64_e32 v[192:193], v[66:67], v[192:193]
	s_delay_alu instid0(VALU_DEP_1) | instskip(SKIP_1) | instid1(VALU_DEP_1)
	v_fma_f64 v[192:193], v[211:212], v[194:195], -v[192:193]
	v_mul_f64_e32 v[194:195], v[66:67], v[198:199]
	v_fma_f64 v[194:195], v[211:212], v[196:197], v[194:195]
	v_mul_f64_e32 v[196:197], v[66:67], v[196:197]
	s_delay_alu instid0(VALU_DEP_1) | instskip(SKIP_2) | instid1(VALU_DEP_2)
	v_fma_f64 v[196:197], v[211:212], v[198:199], -v[196:197]
	v_mul_f64_e32 v[198:199], v[66:67], v[190:191]
	v_mul_f64_e32 v[66:67], v[66:67], v[188:189]
	v_fma_f64 v[198:199], v[211:212], v[188:189], v[198:199]
	v_mul_f64_e32 v[188:189], v[70:71], v[186:187]
	s_delay_alu instid0(VALU_DEP_3) | instskip(NEXT) | instid1(VALU_DEP_2)
	v_fma_f64 v[66:67], v[211:212], v[190:191], -v[66:67]
	v_fma_f64 v[188:189], v[74:75], v[184:185], v[188:189]
	v_mul_f64_e32 v[184:185], v[70:71], v[184:185]
	s_delay_alu instid0(VALU_DEP_1) | instskip(NEXT) | instid1(VALU_DEP_3)
	v_fma_f64 v[184:185], v[74:75], v[186:187], -v[184:185]
	v_add_f64_e32 v[186:187], v[208:209], v[188:189]
	s_delay_alu instid0(VALU_DEP_2) | instskip(NEXT) | instid1(VALU_DEP_2)
	v_add_f64_e32 v[190:191], v[204:205], v[184:185]
	v_fma_f64 v[186:187], v[186:187], -0.5, v[180:181]
	v_add_f64_e32 v[180:181], v[180:181], v[208:209]
	v_add_f64_e64 v[208:209], v[208:209], -v[188:189]
	s_delay_alu instid0(VALU_DEP_4) | instskip(SKIP_3) | instid1(VALU_DEP_3)
	v_fma_f64 v[190:191], v[190:191], -0.5, v[182:183]
	v_add_f64_e32 v[182:183], v[182:183], v[204:205]
	v_add_f64_e64 v[204:205], v[204:205], -v[184:185]
	v_add_f64_e32 v[180:181], v[180:181], v[188:189]
	v_add_f64_e32 v[182:183], v[182:183], v[184:185]
	s_delay_alu instid0(VALU_DEP_3)
	v_fma_f64 v[184:185], v[204:205], s[2:3], v[186:187]
	s_wait_alu 0xfffe
	v_fma_f64 v[188:189], v[204:205], s[8:9], v[186:187]
	v_fma_f64 v[186:187], v[208:209], s[8:9], v[190:191]
	;; [unrolled: 1-line block ×3, first 2 shown]
	ds_store_b128 v222, v[180:183]
	ds_store_b128 v222, v[184:187] offset:256
	ds_store_b128 v222, v[188:191] offset:512
	v_mul_f64_e32 v[180:181], v[70:71], v[178:179]
	s_delay_alu instid0(VALU_DEP_1) | instskip(SKIP_1) | instid1(VALU_DEP_2)
	v_fma_f64 v[180:181], v[74:75], v[176:177], v[180:181]
	v_mul_f64_e32 v[176:177], v[70:71], v[176:177]
	v_add_f64_e64 v[186:187], v[206:207], -v[180:181]
	s_delay_alu instid0(VALU_DEP_2) | instskip(SKIP_1) | instid1(VALU_DEP_2)
	v_fma_f64 v[176:177], v[74:75], v[178:179], -v[176:177]
	v_add_f64_e32 v[178:179], v[206:207], v[180:181]
	v_add_f64_e32 v[182:183], v[200:201], v[176:177]
	s_delay_alu instid0(VALU_DEP_2) | instskip(SKIP_2) | instid1(VALU_DEP_4)
	v_fma_f64 v[178:179], v[178:179], -0.5, v[172:173]
	v_add_f64_e32 v[172:173], v[172:173], v[206:207]
	v_add_f64_e64 v[184:185], v[200:201], -v[176:177]
	v_fma_f64 v[182:183], v[182:183], -0.5, v[174:175]
	v_add_f64_e32 v[174:175], v[174:175], v[200:201]
	s_delay_alu instid0(VALU_DEP_4) | instskip(NEXT) | instid1(VALU_DEP_4)
	v_add_f64_e32 v[172:173], v[172:173], v[180:181]
	v_fma_f64 v[180:181], v[184:185], s[8:9], v[178:179]
	s_delay_alu instid0(VALU_DEP_3)
	v_add_f64_e32 v[174:175], v[174:175], v[176:177]
	v_fma_f64 v[176:177], v[184:185], s[2:3], v[178:179]
	v_fma_f64 v[178:179], v[186:187], s[8:9], v[182:183]
	;; [unrolled: 1-line block ×3, first 2 shown]
	ds_store_b128 v221, v[172:175]
	ds_store_b128 v221, v[176:179] offset:256
	ds_store_b128 v221, v[180:183] offset:512
	v_mul_f64_e32 v[172:173], v[70:71], v[170:171]
	s_delay_alu instid0(VALU_DEP_1) | instskip(SKIP_1) | instid1(VALU_DEP_2)
	v_fma_f64 v[172:173], v[74:75], v[168:169], v[172:173]
	v_mul_f64_e32 v[168:169], v[70:71], v[168:169]
	v_add_f64_e64 v[178:179], v[202:203], -v[172:173]
	s_delay_alu instid0(VALU_DEP_2) | instskip(SKIP_1) | instid1(VALU_DEP_2)
	v_fma_f64 v[168:169], v[74:75], v[170:171], -v[168:169]
	v_add_f64_e32 v[170:171], v[202:203], v[172:173]
	v_add_f64_e32 v[174:175], v[192:193], v[168:169]
	s_delay_alu instid0(VALU_DEP_2) | instskip(SKIP_2) | instid1(VALU_DEP_4)
	v_fma_f64 v[170:171], v[170:171], -0.5, v[164:165]
	v_add_f64_e32 v[164:165], v[164:165], v[202:203]
	v_add_f64_e64 v[176:177], v[192:193], -v[168:169]
	v_fma_f64 v[174:175], v[174:175], -0.5, v[166:167]
	v_add_f64_e32 v[166:167], v[166:167], v[192:193]
	s_delay_alu instid0(VALU_DEP_4) | instskip(NEXT) | instid1(VALU_DEP_4)
	v_add_f64_e32 v[164:165], v[164:165], v[172:173]
	v_fma_f64 v[172:173], v[176:177], s[8:9], v[170:171]
	s_delay_alu instid0(VALU_DEP_3)
	v_add_f64_e32 v[166:167], v[166:167], v[168:169]
	v_fma_f64 v[168:169], v[176:177], s[2:3], v[170:171]
	v_fma_f64 v[170:171], v[178:179], s[8:9], v[174:175]
	;; [unrolled: 1-line block ×3, first 2 shown]
	ds_store_b128 v220, v[164:167]
	ds_store_b128 v220, v[168:171] offset:256
	ds_store_b128 v220, v[172:175] offset:512
	v_mul_f64_e32 v[164:165], v[70:71], v[158:159]
	s_delay_alu instid0(VALU_DEP_1) | instskip(SKIP_1) | instid1(VALU_DEP_1)
	v_fma_f64 v[164:165], v[74:75], v[156:157], v[164:165]
	v_mul_f64_e32 v[156:157], v[70:71], v[156:157]
	v_fma_f64 v[156:157], v[74:75], v[158:159], -v[156:157]
	v_mul_f64_e32 v[158:159], v[70:71], v[162:163]
	v_mul_f64_e32 v[70:71], v[70:71], v[160:161]
	s_delay_alu instid0(VALU_DEP_2) | instskip(NEXT) | instid1(VALU_DEP_2)
	v_fma_f64 v[166:167], v[74:75], v[160:161], v[158:159]
	v_fma_f64 v[70:71], v[74:75], v[162:163], -v[70:71]
	v_add_f64_e32 v[74:75], v[194:195], v[164:165]
	v_add_f64_e32 v[158:159], v[196:197], v[156:157]
	s_delay_alu instid0(VALU_DEP_2) | instskip(SKIP_1) | instid1(VALU_DEP_3)
	v_fma_f64 v[74:75], v[74:75], -0.5, v[152:153]
	v_add_f64_e32 v[152:153], v[152:153], v[194:195]
	v_fma_f64 v[162:163], v[158:159], -0.5, v[154:155]
	v_add_f64_e32 v[154:155], v[154:155], v[196:197]
	v_add_f64_e64 v[158:159], v[196:197], -v[156:157]
	s_delay_alu instid0(VALU_DEP_4) | instskip(SKIP_1) | instid1(VALU_DEP_4)
	v_add_f64_e32 v[152:153], v[152:153], v[164:165]
	v_add_f64_e64 v[164:165], v[194:195], -v[164:165]
	v_add_f64_e32 v[154:155], v[154:155], v[156:157]
	s_delay_alu instid0(VALU_DEP_4)
	v_fma_f64 v[156:157], v[158:159], s[2:3], v[74:75]
	v_fma_f64 v[160:161], v[158:159], s[8:9], v[74:75]
	v_add_f64_e32 v[74:75], v[198:199], v[166:167]
	v_fma_f64 v[158:159], v[164:165], s[8:9], v[162:163]
	v_fma_f64 v[162:163], v[164:165], s[2:3], v[162:163]
	v_add_f64_e32 v[164:165], v[66:67], v[70:71]
	ds_store_b128 v219, v[152:155]
	ds_store_b128 v219, v[156:159] offset:256
	ds_store_b128 v219, v[160:163] offset:512
	v_fma_f64 v[74:75], v[74:75], -0.5, v[148:149]
	v_add_f64_e32 v[148:149], v[148:149], v[198:199]
	v_fma_f64 v[170:171], v[164:165], -0.5, v[150:151]
	v_add_f64_e32 v[150:151], v[150:151], v[66:67]
	v_add_f64_e64 v[66:67], v[66:67], -v[70:71]
	s_delay_alu instid0(VALU_DEP_4) | instskip(NEXT) | instid1(VALU_DEP_3)
	v_add_f64_e32 v[148:149], v[148:149], v[166:167]
	v_add_f64_e32 v[150:151], v[150:151], v[70:71]
	s_delay_alu instid0(VALU_DEP_3) | instskip(SKIP_3) | instid1(VALU_DEP_1)
	v_fma_f64 v[164:165], v[66:67], s[2:3], v[74:75]
	v_fma_f64 v[168:169], v[66:67], s[8:9], v[74:75]
	scratch_load_b32 v66, off, off offset:8 th:TH_LOAD_LU ; 4-byte Folded Reload
	v_add_f64_e64 v[70:71], v[198:199], -v[166:167]
	v_fma_f64 v[166:167], v[70:71], s[8:9], v[170:171]
	v_fma_f64 v[170:171], v[70:71], s[2:3], v[170:171]
	s_wait_loadcnt 0x0
	ds_store_b128 v66, v[148:151]
	ds_store_b128 v66, v[164:167] offset:256
	ds_store_b128 v66, v[168:171] offset:512
	s_and_saveexec_b32 s10, vcc_lo
	s_cbranch_execz .LBB0_9
; %bb.8:
	scratch_load_b64 v[74:75], off, off offset:12 th:TH_LOAD_LU ; 8-byte Folded Reload
	v_mul_f64_e32 v[66:67], v[72:73], v[88:89]
	v_mul_f64_e32 v[72:73], v[72:73], v[90:91]
	s_delay_alu instid0(VALU_DEP_2) | instskip(NEXT) | instid1(VALU_DEP_2)
	v_fma_f64 v[66:67], v[64:65], v[90:91], -v[66:67]
	v_fma_f64 v[64:65], v[64:65], v[88:89], v[72:73]
	s_delay_alu instid0(VALU_DEP_2) | instskip(SKIP_3) | instid1(VALU_DEP_2)
	v_add_f64_e32 v[90:91], v[146:147], v[66:67]
	s_wait_loadcnt 0x0
	v_mul_f64_e32 v[70:71], v[74:75], v[92:93]
	v_mul_f64_e32 v[74:75], v[74:75], v[94:95]
	v_fma_f64 v[70:71], v[68:69], v[94:95], -v[70:71]
	s_delay_alu instid0(VALU_DEP_2) | instskip(NEXT) | instid1(VALU_DEP_2)
	v_fma_f64 v[68:69], v[68:69], v[92:93], v[74:75]
	v_add_f64_e32 v[72:73], v[66:67], v[70:71]
	s_delay_alu instid0(VALU_DEP_2)
	v_add_f64_e32 v[74:75], v[64:65], v[68:69]
	v_add_f64_e64 v[88:89], v[64:65], -v[68:69]
	v_add_f64_e32 v[64:65], v[144:145], v[64:65]
	v_add_f64_e64 v[92:93], v[66:67], -v[70:71]
	v_add_f64_e32 v[66:67], v[90:91], v[70:71]
	v_fma_f64 v[72:73], v[72:73], -0.5, v[146:147]
	v_fma_f64 v[94:95], v[74:75], -0.5, v[144:145]
	v_add_f64_e32 v[64:65], v[64:65], v[68:69]
	s_delay_alu instid0(VALU_DEP_3) | instskip(SKIP_1) | instid1(VALU_DEP_4)
	v_fma_f64 v[70:71], v[88:89], s[2:3], v[72:73]
	v_fma_f64 v[74:75], v[88:89], s[8:9], v[72:73]
	;; [unrolled: 1-line block ×4, first 2 shown]
	ds_store_b128 v213, v[64:67] offset:11520
	ds_store_b128 v213, v[72:75] offset:11776
	;; [unrolled: 1-line block ×3, first 2 shown]
.LBB0_9:
	s_wait_alu 0xfffe
	s_or_b32 exec_lo, exec_lo, s10
	global_wb scope:SCOPE_SE
	s_wait_dscnt 0x0
	s_barrier_signal -1
	s_barrier_wait -1
	global_inv scope:SCOPE_SE
	ds_load_b128 v[64:67], v213 offset:768
	ds_load_b128 v[68:71], v213 offset:1536
	;; [unrolled: 1-line block ×15, first 2 shown]
	s_mov_b32 s8, 0x667f3bcd
	s_mov_b32 s9, 0xbfe6a09e
	;; [unrolled: 1-line block ×3, first 2 shown]
	s_wait_alu 0xfffe
	s_mov_b32 s12, s8
	s_mov_b32 s23, 0x3fed906b
	s_wait_dscnt 0xe
	v_mul_f64_e32 v[184:185], v[86:87], v[66:67]
	s_wait_dscnt 0xd
	v_mul_f64_e32 v[186:187], v[82:83], v[70:71]
	v_mul_f64_e32 v[82:83], v[82:83], v[68:69]
	s_wait_dscnt 0xc
	v_mul_f64_e32 v[188:189], v[78:79], v[74:75]
	;; [unrolled: 3-line block ×7, first 2 shown]
	s_wait_dscnt 0x3
	v_mul_f64_e32 v[200:201], v[118:119], v[170:171]
	v_mul_f64_e32 v[118:119], v[118:119], v[168:169]
	;; [unrolled: 1-line block ×3, first 2 shown]
	s_wait_dscnt 0x1
	v_mul_f64_e32 v[204:205], v[126:127], v[178:179]
	v_mul_f64_e32 v[126:127], v[126:127], v[176:177]
	;; [unrolled: 1-line block ×11, first 2 shown]
	s_wait_dscnt 0x0
	v_mul_f64_e32 v[215:216], v[142:143], v[180:181]
	v_mul_f64_e32 v[142:143], v[142:143], v[182:183]
	s_mov_b32 s22, s14
	s_mov_b32 s16, 0xa6aea964
	;; [unrolled: 1-line block ×4, first 2 shown]
	s_wait_alu 0xfffe
	s_mov_b32 s18, s16
	s_mul_u64 s[10:11], s[4:5], 0x300
	s_mul_u64 s[20:21], s[4:5], 0x600
	s_mov_b32 s2, 0x55555555
	v_fma_f64 v[184:185], v[84:85], v[64:65], v[184:185]
	v_fma_f64 v[68:69], v[80:81], v[68:69], v[186:187]
	v_fma_f64 v[70:71], v[80:81], v[70:71], -v[82:83]
	v_fma_f64 v[72:73], v[76:77], v[72:73], v[188:189]
	v_fma_f64 v[74:75], v[76:77], v[74:75], -v[78:79]
	v_fma_f64 v[76:77], v[96:97], v[88:89], v[190:191]
	v_fma_f64 v[78:79], v[96:97], v[90:91], -v[98:99]
	v_fma_f64 v[80:81], v[100:101], v[92:93], v[192:193]
	v_fma_f64 v[82:83], v[100:101], v[94:95], -v[102:103]
	s_mov_b32 s3, 0x3f555555
	v_fma_f64 v[88:89], v[104:105], v[146:147], -v[106:107]
	v_fma_f64 v[90:91], v[108:109], v[148:149], v[196:197]
	v_fma_f64 v[92:93], v[108:109], v[150:151], -v[110:111]
	v_fma_f64 v[94:95], v[112:113], v[152:153], v[198:199]
	v_fma_f64 v[98:99], v[116:117], v[168:169], v[200:201]
	v_fma_f64 v[100:101], v[116:117], v[170:171], -v[118:119]
	v_fma_f64 v[102:103], v[120:121], v[160:161], v[202:203]
	v_fma_f64 v[106:107], v[124:125], v[176:177], v[204:205]
	v_fma_f64 v[108:109], v[124:125], v[178:179], -v[126:127]
	v_fma_f64 v[84:85], v[84:85], v[66:67], -v[86:87]
	ds_load_b128 v[64:67], v213
	v_fma_f64 v[86:87], v[104:105], v[144:145], v[194:195]
	v_fma_f64 v[96:97], v[112:113], v[154:155], -v[114:115]
	v_fma_f64 v[104:105], v[120:121], v[162:163], -v[122:123]
	v_fma_f64 v[110:111], v[128:129], v[156:157], v[206:207]
	v_fma_f64 v[112:113], v[128:129], v[158:159], -v[130:131]
	v_fma_f64 v[114:115], v[132:133], v[172:173], v[208:209]
	;; [unrolled: 2-line block ×3, first 2 shown]
	v_fma_f64 v[120:121], v[136:137], v[166:167], -v[138:139]
	v_fma_f64 v[122:123], v[140:141], v[182:183], -v[215:216]
	v_fma_f64 v[124:125], v[140:141], v[180:181], v[142:143]
	v_mad_co_u64_u32 v[160:161], null, s4, v214, 0
	v_or_b32_e32 v168, 0x180, v214
	v_mad_co_u64_u32 v[162:163], null, s4, v255, 0
	s_delay_alu instid0(VALU_DEP_2)
	v_mad_co_u64_u32 v[164:165], null, s4, v168, 0
	s_wait_dscnt 0x0
	v_add_f64_e64 v[94:95], v[64:65], -v[94:95]
	v_add_f64_e64 v[98:99], v[76:77], -v[98:99]
	;; [unrolled: 1-line block ×16, first 2 shown]
	v_fma_f64 v[64:65], v[64:65], 2.0, -v[94:95]
	v_fma_f64 v[76:77], v[76:77], 2.0, -v[98:99]
	v_add_f64_e32 v[126:127], v[94:95], v[100:101]
	v_fma_f64 v[78:79], v[78:79], 2.0, -v[100:101]
	v_fma_f64 v[68:69], v[68:69], 2.0, -v[102:103]
	v_add_f64_e32 v[130:131], v[102:103], v[108:109]
	v_fma_f64 v[88:89], v[88:89], 2.0, -v[108:109]
	v_fma_f64 v[86:87], v[86:87], 2.0, -v[106:107]
	v_add_f64_e64 v[128:129], v[96:97], -v[98:99]
	v_add_f64_e64 v[132:133], v[104:105], -v[106:107]
	v_fma_f64 v[98:99], v[184:185], 2.0, -v[110:111]
	v_fma_f64 v[84:85], v[84:85], 2.0, -v[112:113]
	v_add_f64_e64 v[136:137], v[112:113], -v[114:115]
	v_fma_f64 v[80:81], v[80:81], 2.0, -v[114:115]
	v_fma_f64 v[82:83], v[82:83], 2.0, -v[116:117]
	;; [unrolled: 1-line block ×6, first 2 shown]
	v_add_f64_e32 v[134:135], v[110:111], v[116:117]
	v_add_f64_e64 v[140:141], v[120:121], -v[124:125]
	v_fma_f64 v[66:67], v[66:67], 2.0, -v[96:97]
	v_fma_f64 v[70:71], v[70:71], 2.0, -v[104:105]
	v_add_f64_e32 v[138:139], v[118:119], v[122:123]
	v_add_f64_e64 v[76:77], v[64:65], -v[76:77]
	v_fma_f64 v[92:93], v[94:95], 2.0, -v[126:127]
	v_fma_f64 v[90:91], v[102:103], 2.0, -v[130:131]
	v_add_f64_e64 v[86:87], v[68:69], -v[86:87]
	v_fma_f64 v[94:95], v[96:97], 2.0, -v[128:129]
	v_fma_f64 v[96:97], v[104:105], 2.0, -v[132:133]
	;; [unrolled: 1-line block ×3, first 2 shown]
	v_add_f64_e64 v[112:113], v[98:99], -v[80:81]
	v_add_f64_e64 v[114:115], v[84:85], -v[82:83]
	v_fma_f64 v[80:81], v[130:131], s[12:13], v[126:127]
	v_fma_f64 v[82:83], v[132:133], s[12:13], v[128:129]
	v_add_f64_e64 v[116:117], v[100:101], -v[72:73]
	v_fma_f64 v[102:103], v[110:111], 2.0, -v[134:135]
	v_fma_f64 v[110:111], v[120:121], 2.0, -v[140:141]
	v_add_f64_e64 v[78:79], v[66:67], -v[78:79]
	v_add_f64_e64 v[88:89], v[70:71], -v[88:89]
	v_fma_f64 v[108:109], v[118:119], 2.0, -v[138:139]
	v_add_f64_e64 v[118:119], v[106:107], -v[74:75]
	v_fma_f64 v[120:121], v[138:139], s[12:13], v[134:135]
	v_fma_f64 v[122:123], v[140:141], s[12:13], v[136:137]
	v_fma_f64 v[148:149], v[64:65], 2.0, -v[76:77]
	v_fma_f64 v[124:125], v[90:91], s[8:9], v[92:93]
	v_fma_f64 v[152:153], v[68:69], 2.0, -v[86:87]
	;; [unrolled: 2-line block ×3, first 2 shown]
	v_fma_f64 v[156:157], v[84:85], 2.0, -v[114:115]
	v_fma_f64 v[72:73], v[132:133], s[12:13], v[80:81]
	v_fma_f64 v[74:75], v[130:131], s[8:9], v[82:83]
	v_fma_f64 v[84:85], v[100:101], 2.0, -v[116:117]
	v_fma_f64 v[146:147], v[110:111], s[8:9], v[104:105]
	v_fma_f64 v[150:151], v[66:67], 2.0, -v[78:79]
	v_fma_f64 v[154:155], v[70:71], 2.0, -v[88:89]
	v_fma_f64 v[144:145], v[108:109], s[8:9], v[102:103]
	v_add_f64_e32 v[68:69], v[76:77], v[88:89]
	v_add_f64_e64 v[70:71], v[78:79], -v[86:87]
	v_fma_f64 v[86:87], v[106:107], 2.0, -v[118:119]
	v_add_f64_e32 v[100:101], v[112:113], v[118:119]
	v_add_f64_e64 v[106:107], v[114:115], -v[116:117]
	v_fma_f64 v[116:117], v[140:141], s[12:13], v[120:121]
	v_fma_f64 v[118:119], v[138:139], s[8:9], v[122:123]
	v_fma_f64 v[64:65], v[96:97], s[12:13], v[124:125]
	v_add_f64_e64 v[88:89], v[148:149], -v[152:153]
	v_fma_f64 v[66:67], v[90:91], s[8:9], v[142:143]
	v_fma_f64 v[80:81], v[126:127], 2.0, -v[72:73]
	v_fma_f64 v[82:83], v[128:129], 2.0, -v[74:75]
	v_add_f64_e64 v[96:97], v[98:99], -v[84:85]
	v_fma_f64 v[122:123], v[108:109], s[8:9], v[146:147]
	v_add_f64_e64 v[90:91], v[150:151], -v[154:155]
	v_fma_f64 v[120:121], v[110:111], s[12:13], v[144:145]
	v_fma_f64 v[76:77], v[76:77], 2.0, -v[68:69]
	v_fma_f64 v[78:79], v[78:79], 2.0, -v[70:71]
	v_add_f64_e64 v[108:109], v[156:157], -v[86:87]
	v_fma_f64 v[110:111], v[112:113], 2.0, -v[100:101]
	v_fma_f64 v[112:113], v[114:115], 2.0, -v[106:107]
	;; [unrolled: 1-line block ×4, first 2 shown]
	v_fma_f64 v[130:131], v[116:117], s[22:23], v[72:73]
	v_fma_f64 v[132:133], v[118:119], s[22:23], v[74:75]
	v_fma_f64 v[84:85], v[92:93], 2.0, -v[64:65]
	scratch_load_b64 v[92:93], off, off th:TH_LOAD_LU ; 8-byte Folded Reload
	v_fma_f64 v[134:135], v[148:149], 2.0, -v[88:89]
	v_fma_f64 v[86:87], v[94:95], 2.0, -v[66:67]
	;; [unrolled: 1-line block ×4, first 2 shown]
	v_fma_f64 v[104:105], v[106:107], s[12:13], v[70:71]
	v_fma_f64 v[136:137], v[150:151], 2.0, -v[90:91]
	v_fma_f64 v[126:127], v[102:103], 2.0, -v[120:121]
	v_fma_f64 v[102:103], v[100:101], s[12:13], v[68:69]
	v_fma_f64 v[150:151], v[120:121], s[16:17], v[64:65]
	;; [unrolled: 1-line block ×5, first 2 shown]
	s_wait_alu 0xfffe
	v_fma_f64 v[146:147], v[114:115], s[18:19], v[80:81]
	v_fma_f64 v[148:149], v[124:125], s[18:19], v[82:83]
	v_fma_f64 v[140:141], v[156:157], 2.0, -v[108:109]
	v_add_f64_e64 v[94:95], v[90:91], -v[96:97]
	v_fma_f64 v[156:157], v[128:129], s[14:15], v[86:87]
	v_fma_f64 v[98:99], v[100:101], s[8:9], v[104:105]
	;; [unrolled: 1-line block ×9, first 2 shown]
	v_add_f64_e64 v[104:105], v[134:135], -v[138:139]
	v_fma_f64 v[114:115], v[114:115], s[14:15], v[148:149]
	v_add_f64_e64 v[106:107], v[136:137], -v[140:141]
	v_or_b32_e32 v132, 0x240, v214
	v_fma_f64 v[90:91], v[90:91], 2.0, -v[94:95]
	v_fma_f64 v[122:123], v[126:127], s[18:19], v[156:157]
	v_fma_f64 v[70:71], v[70:71], 2.0, -v[98:99]
	v_fma_f64 v[72:73], v[72:73], 2.0, -v[100:101]
	v_fma_f64 v[120:121], v[128:129], s[16:17], v[154:155]
	v_mad_co_u64_u32 v[128:129], null, s4, v132, 0
	v_fma_f64 v[68:69], v[68:69], 2.0, -v[96:97]
	v_fma_f64 v[74:75], v[74:75], 2.0, -v[102:103]
	;; [unrolled: 1-line block ×6, first 2 shown]
	v_dual_mov_b32 v127, v129 :: v_dual_mov_b32 v126, v165
	v_fma_f64 v[86:87], v[86:87], 2.0, -v[122:123]
	v_fma_f64 v[84:85], v[84:85], 2.0, -v[120:121]
	s_wait_loadcnt 0x0
	v_mov_b32_e32 v93, v92
	s_delay_alu instid0(VALU_DEP_1) | instskip(NEXT) | instid1(VALU_DEP_1)
	v_mad_co_u64_u32 v[158:159], null, s6, v93, 0
	v_dual_mov_b32 v92, v159 :: v_dual_mov_b32 v159, v161
	s_delay_alu instid0(VALU_DEP_1)
	v_mad_co_u64_u32 v[166:167], null, s7, v93, v[92:93]
	v_add_f64_e32 v[92:93], v[88:89], v[108:109]
	v_fma_f64 v[108:109], v[112:113], s[12:13], v[142:143]
	v_fma_f64 v[112:113], v[124:125], s[22:23], v[146:147]
	v_mad_co_u64_u32 v[124:125], null, s5, v214, v[159:160]
	v_mov_b32_e32 v125, v163
	v_mov_b32_e32 v159, v166
	s_delay_alu instid0(VALU_DEP_2) | instskip(NEXT) | instid1(VALU_DEP_4)
	v_mad_co_u64_u32 v[129:130], null, s5, v255, v[125:126]
	v_mov_b32_e32 v161, v124
	s_delay_alu instid0(VALU_DEP_3) | instskip(SKIP_3) | instid1(VALU_DEP_4)
	v_lshlrev_b64_e32 v[124:125], 4, v[158:159]
	v_mad_co_u64_u32 v[130:131], null, s5, v168, v[126:127]
	v_mad_co_u64_u32 v[131:132], null, s5, v132, v[127:128]
	v_fma_f64 v[126:127], v[136:137], 2.0, -v[106:107]
	v_add_co_u32 v182, vcc_lo, s0, v124
	s_wait_alu 0xfffd
	v_add_co_ci_u32_e32 v183, vcc_lo, s1, v125, vcc_lo
	v_fma_f64 v[124:125], v[134:135], 2.0, -v[104:105]
	v_mov_b32_e32 v163, v129
	v_lshlrev_b64_e32 v[132:133], 4, v[160:161]
	v_mov_b32_e32 v165, v130
	v_mov_b32_e32 v129, v131
	s_delay_alu instid0(VALU_DEP_4) | instskip(NEXT) | instid1(VALU_DEP_4)
	v_lshlrev_b64_e32 v[138:139], 4, v[162:163]
	v_add_co_u32 v132, vcc_lo, v182, v132
	s_wait_alu 0xfffd
	v_add_co_ci_u32_e32 v133, vcc_lo, v183, v133, vcc_lo
	v_lshlrev_b64_e32 v[164:165], 4, v[164:165]
	s_delay_alu instid0(VALU_DEP_3)
	v_add_co_u32 v134, vcc_lo, v132, s10
	v_fma_f64 v[88:89], v[88:89], 2.0, -v[92:93]
	v_fma_f64 v[76:77], v[76:77], 2.0, -v[108:109]
	;; [unrolled: 1-line block ×3, first 2 shown]
	s_wait_alu 0xfffd
	v_add_co_ci_u32_e32 v135, vcc_lo, s11, v133, vcc_lo
	v_add_co_u32 v136, vcc_lo, v134, s10
	ds_store_b128 v213, v[96:99] offset:10752
	ds_store_b128 v213, v[100:103] offset:11520
	;; [unrolled: 1-line block ×14, first 2 shown]
	ds_store_b128 v213, v[124:127]
	ds_store_b128 v213, v[84:87] offset:768
	global_wb scope:SCOPE_SE
	s_wait_dscnt 0x0
	s_barrier_signal -1
	s_barrier_wait -1
	global_inv scope:SCOPE_SE
	ds_load_b128 v[64:67], v213
	ds_load_b128 v[68:71], v213 offset:768
	ds_load_b128 v[72:75], v213 offset:1536
	ds_load_b128 v[76:79], v213 offset:2304
	ds_load_b128 v[80:83], v213 offset:3072
	ds_load_b128 v[84:87], v213 offset:3840
	ds_load_b128 v[88:91], v213 offset:4608
	ds_load_b128 v[92:95], v213 offset:5376
	ds_load_b128 v[96:99], v213 offset:6144
	ds_load_b128 v[100:103], v213 offset:6912
	ds_load_b128 v[104:107], v213 offset:7680
	ds_load_b128 v[108:111], v213 offset:8448
	ds_load_b128 v[112:115], v213 offset:9216
	ds_load_b128 v[116:119], v213 offset:9984
	ds_load_b128 v[120:123], v213 offset:10752
	ds_load_b128 v[124:127], v213 offset:11520
	s_wait_alu 0xfffd
	v_add_co_ci_u32_e32 v137, vcc_lo, s11, v135, vcc_lo
	v_add_co_u32 v130, vcc_lo, v136, s10
	s_wait_alu 0xfffd
	s_delay_alu instid0(VALU_DEP_2) | instskip(NEXT) | instid1(VALU_DEP_2)
	v_add_co_ci_u32_e32 v131, vcc_lo, s11, v137, vcc_lo
	v_add_co_u32 v140, vcc_lo, v130, s20
	s_wait_dscnt 0xb
	v_mul_f64_e32 v[152:153], v[14:15], v[82:83]
	v_mul_f64_e32 v[14:15], v[14:15], v[80:81]
	s_wait_dscnt 0xa
	v_mul_f64_e32 v[154:155], v[10:11], v[86:87]
	v_mul_f64_e32 v[10:11], v[10:11], v[84:85]
	;; [unrolled: 3-line block ×3, first 2 shown]
	v_mul_f64_e32 v[144:145], v[38:39], v[66:67]
	v_mul_f64_e32 v[38:39], v[38:39], v[64:65]
	;; [unrolled: 1-line block ×8, first 2 shown]
	s_wait_dscnt 0x8
	v_mul_f64_e32 v[158:159], v[2:3], v[94:95]
	v_mul_f64_e32 v[2:3], v[2:3], v[92:93]
	s_wait_dscnt 0x7
	v_mul_f64_e32 v[160:161], v[26:27], v[98:99]
	v_mul_f64_e32 v[26:27], v[26:27], v[96:97]
	;; [unrolled: 3-line block ×9, first 2 shown]
	s_wait_alu 0xfffd
	v_add_co_ci_u32_e32 v141, vcc_lo, s21, v131, vcc_lo
	v_add_co_u32 v142, vcc_lo, v140, s10
	s_wait_alu 0xfffd
	s_delay_alu instid0(VALU_DEP_2) | instskip(NEXT) | instid1(VALU_DEP_2)
	v_add_co_ci_u32_e32 v143, vcc_lo, s11, v141, vcc_lo
	v_add_co_u32 v178, vcc_lo, v142, s10
	s_wait_alu 0xfffd
	s_delay_alu instid0(VALU_DEP_2)
	v_add_co_ci_u32_e32 v179, vcc_lo, s11, v143, vcc_lo
	v_fma_f64 v[64:65], v[36:37], v[64:65], v[144:145]
	v_fma_f64 v[36:37], v[36:37], v[66:67], -v[38:39]
	v_fma_f64 v[38:39], v[32:33], v[68:69], v[146:147]
	v_fma_f64 v[32:33], v[32:33], v[70:71], -v[34:35]
	;; [unrolled: 2-line block ×16, first 2 shown]
	v_add_co_u32 v180, vcc_lo, v178, s20
	s_wait_alu 0xfffd
	v_add_co_ci_u32_e32 v181, vcc_lo, s21, v179, vcc_lo
	v_lshlrev_b64_e32 v[102:103], 4, v[128:129]
	s_delay_alu instid0(VALU_DEP_3)
	v_add_co_u32 v100, vcc_lo, v180, s10
	v_mul_f64_e32 v[0:1], s[2:3], v[64:65]
	v_mul_f64_e32 v[2:3], s[2:3], v[36:37]
	;; [unrolled: 1-line block ×30, first 2 shown]
	s_wait_alu 0xfffd
	v_add_co_ci_u32_e32 v101, vcc_lo, s11, v181, vcc_lo
	v_mul_f64_e32 v[60:61], s[2:3], v[98:99]
	v_mul_f64_e32 v[62:63], s[2:3], v[62:63]
	v_add_co_u32 v104, vcc_lo, v100, s10
	s_wait_alu 0xfffd
	v_add_co_ci_u32_e32 v105, vcc_lo, s11, v101, vcc_lo
	v_add_co_u32 v64, vcc_lo, v182, v138
	s_wait_alu 0xfffd
	v_add_co_ci_u32_e32 v65, vcc_lo, v183, v139, vcc_lo
	;; [unrolled: 3-line block ×7, first 2 shown]
	s_clause 0x5
	global_store_b128 v[132:133], v[0:3], off
	global_store_b128 v[134:135], v[4:7], off
	;; [unrolled: 1-line block ×16, first 2 shown]
.LBB0_10:
	s_nop 0
	s_sendmsg sendmsg(MSG_DEALLOC_VGPRS)
	s_endpgm
	.section	.rodata,"a",@progbits
	.p2align	6, 0x0
	.amdhsa_kernel bluestein_single_back_len768_dim1_dp_op_CI_CI
		.amdhsa_group_segment_fixed_size 12288
		.amdhsa_private_segment_fixed_size 24
		.amdhsa_kernarg_size 104
		.amdhsa_user_sgpr_count 2
		.amdhsa_user_sgpr_dispatch_ptr 0
		.amdhsa_user_sgpr_queue_ptr 0
		.amdhsa_user_sgpr_kernarg_segment_ptr 1
		.amdhsa_user_sgpr_dispatch_id 0
		.amdhsa_user_sgpr_private_segment_size 0
		.amdhsa_wavefront_size32 1
		.amdhsa_uses_dynamic_stack 0
		.amdhsa_enable_private_segment 1
		.amdhsa_system_sgpr_workgroup_id_x 1
		.amdhsa_system_sgpr_workgroup_id_y 0
		.amdhsa_system_sgpr_workgroup_id_z 0
		.amdhsa_system_sgpr_workgroup_info 0
		.amdhsa_system_vgpr_workitem_id 0
		.amdhsa_next_free_vgpr 256
		.amdhsa_next_free_sgpr 24
		.amdhsa_reserve_vcc 1
		.amdhsa_float_round_mode_32 0
		.amdhsa_float_round_mode_16_64 0
		.amdhsa_float_denorm_mode_32 3
		.amdhsa_float_denorm_mode_16_64 3
		.amdhsa_fp16_overflow 0
		.amdhsa_workgroup_processor_mode 1
		.amdhsa_memory_ordered 1
		.amdhsa_forward_progress 0
		.amdhsa_round_robin_scheduling 0
		.amdhsa_exception_fp_ieee_invalid_op 0
		.amdhsa_exception_fp_denorm_src 0
		.amdhsa_exception_fp_ieee_div_zero 0
		.amdhsa_exception_fp_ieee_overflow 0
		.amdhsa_exception_fp_ieee_underflow 0
		.amdhsa_exception_fp_ieee_inexact 0
		.amdhsa_exception_int_div_zero 0
	.end_amdhsa_kernel
	.text
.Lfunc_end0:
	.size	bluestein_single_back_len768_dim1_dp_op_CI_CI, .Lfunc_end0-bluestein_single_back_len768_dim1_dp_op_CI_CI
                                        ; -- End function
	.section	.AMDGPU.csdata,"",@progbits
; Kernel info:
; codeLenInByte = 14364
; NumSgprs: 26
; NumVgprs: 256
; ScratchSize: 24
; MemoryBound: 0
; FloatMode: 240
; IeeeMode: 1
; LDSByteSize: 12288 bytes/workgroup (compile time only)
; SGPRBlocks: 3
; VGPRBlocks: 31
; NumSGPRsForWavesPerEU: 26
; NumVGPRsForWavesPerEU: 256
; Occupancy: 5
; WaveLimiterHint : 1
; COMPUTE_PGM_RSRC2:SCRATCH_EN: 1
; COMPUTE_PGM_RSRC2:USER_SGPR: 2
; COMPUTE_PGM_RSRC2:TRAP_HANDLER: 0
; COMPUTE_PGM_RSRC2:TGID_X_EN: 1
; COMPUTE_PGM_RSRC2:TGID_Y_EN: 0
; COMPUTE_PGM_RSRC2:TGID_Z_EN: 0
; COMPUTE_PGM_RSRC2:TIDIG_COMP_CNT: 0
	.text
	.p2alignl 7, 3214868480
	.fill 96, 4, 3214868480
	.type	__hip_cuid_1e0509138bd0dfc4,@object ; @__hip_cuid_1e0509138bd0dfc4
	.section	.bss,"aw",@nobits
	.globl	__hip_cuid_1e0509138bd0dfc4
__hip_cuid_1e0509138bd0dfc4:
	.byte	0                               ; 0x0
	.size	__hip_cuid_1e0509138bd0dfc4, 1

	.ident	"AMD clang version 19.0.0git (https://github.com/RadeonOpenCompute/llvm-project roc-6.4.0 25133 c7fe45cf4b819c5991fe208aaa96edf142730f1d)"
	.section	".note.GNU-stack","",@progbits
	.addrsig
	.addrsig_sym __hip_cuid_1e0509138bd0dfc4
	.amdgpu_metadata
---
amdhsa.kernels:
  - .args:
      - .actual_access:  read_only
        .address_space:  global
        .offset:         0
        .size:           8
        .value_kind:     global_buffer
      - .actual_access:  read_only
        .address_space:  global
        .offset:         8
        .size:           8
        .value_kind:     global_buffer
      - .actual_access:  read_only
        .address_space:  global
        .offset:         16
        .size:           8
        .value_kind:     global_buffer
      - .actual_access:  read_only
        .address_space:  global
        .offset:         24
        .size:           8
        .value_kind:     global_buffer
      - .actual_access:  read_only
        .address_space:  global
        .offset:         32
        .size:           8
        .value_kind:     global_buffer
      - .offset:         40
        .size:           8
        .value_kind:     by_value
      - .address_space:  global
        .offset:         48
        .size:           8
        .value_kind:     global_buffer
      - .address_space:  global
        .offset:         56
        .size:           8
        .value_kind:     global_buffer
      - .address_space:  global
        .offset:         64
        .size:           8
        .value_kind:     global_buffer
      - .address_space:  global
        .offset:         72
        .size:           8
        .value_kind:     global_buffer
      - .offset:         80
        .size:           4
        .value_kind:     by_value
      - .address_space:  global
        .offset:         88
        .size:           8
        .value_kind:     global_buffer
      - .address_space:  global
        .offset:         96
        .size:           8
        .value_kind:     global_buffer
    .group_segment_fixed_size: 12288
    .kernarg_segment_align: 8
    .kernarg_segment_size: 104
    .language:       OpenCL C
    .language_version:
      - 2
      - 0
    .max_flat_workgroup_size: 48
    .name:           bluestein_single_back_len768_dim1_dp_op_CI_CI
    .private_segment_fixed_size: 24
    .sgpr_count:     26
    .sgpr_spill_count: 0
    .symbol:         bluestein_single_back_len768_dim1_dp_op_CI_CI.kd
    .uniform_work_group_size: 1
    .uses_dynamic_stack: false
    .vgpr_count:     256
    .vgpr_spill_count: 5
    .wavefront_size: 32
    .workgroup_processor_mode: 1
amdhsa.target:   amdgcn-amd-amdhsa--gfx1201
amdhsa.version:
  - 1
  - 2
...

	.end_amdgpu_metadata
